;; amdgpu-corpus repo=ROCm/rocSPARSE kind=compiled arch=gfx1250 opt=O3
	.amdgcn_target "amdgcn-amd-amdhsa--gfx1250"
	.amdhsa_code_object_version 6
	.section	.text._ZN9rocsparseL38csrgeam_fill_symbolic_multipass_kernelILj256ELj32EiiEEvllPKT1_PKT2_S3_S6_S3_PS4_21rocsparse_index_base_S8_S8_,"axG",@progbits,_ZN9rocsparseL38csrgeam_fill_symbolic_multipass_kernelILj256ELj32EiiEEvllPKT1_PKT2_S3_S6_S3_PS4_21rocsparse_index_base_S8_S8_,comdat
	.globl	_ZN9rocsparseL38csrgeam_fill_symbolic_multipass_kernelILj256ELj32EiiEEvllPKT1_PKT2_S3_S6_S3_PS4_21rocsparse_index_base_S8_S8_ ; -- Begin function _ZN9rocsparseL38csrgeam_fill_symbolic_multipass_kernelILj256ELj32EiiEEvllPKT1_PKT2_S3_S6_S3_PS4_21rocsparse_index_base_S8_S8_
	.p2align	8
	.type	_ZN9rocsparseL38csrgeam_fill_symbolic_multipass_kernelILj256ELj32EiiEEvllPKT1_PKT2_S3_S6_S3_PS4_21rocsparse_index_base_S8_S8_,@function
_ZN9rocsparseL38csrgeam_fill_symbolic_multipass_kernelILj256ELj32EiiEEvllPKT1_PKT2_S3_S6_S3_PS4_21rocsparse_index_base_S8_S8_: ; @_ZN9rocsparseL38csrgeam_fill_symbolic_multipass_kernelILj256ELj32EiiEEvllPKT1_PKT2_S3_S6_S3_PS4_21rocsparse_index_base_S8_S8_
; %bb.0:
	s_load_b128 s[4:7], s[0:1], 0x0
	s_bfe_u32 s2, ttmp6, 0x4000c
	s_and_b32 s3, ttmp6, 15
	s_add_co_i32 s2, s2, 1
	s_getreg_b32 s8, hwreg(HW_REG_IB_STS2, 6, 4)
	s_mul_i32 s2, ttmp9, s2
	v_dual_lshrrev_b32 v1, 5, v0 :: v_dual_mov_b32 v7, 0
	s_add_co_i32 s3, s3, s2
	s_cmp_eq_u32 s8, 0
	s_cselect_b32 s2, ttmp9, s3
	s_delay_alu instid0(SALU_CYCLE_1) | instskip(NEXT) | instid1(SALU_CYCLE_1)
	s_lshl_b32 s2, s2, 3
	v_and_or_b32 v6, 0x7fffff8, s2, v1
	s_mov_b32 s2, exec_lo
	s_wait_kmcnt 0x0
	s_delay_alu instid0(VALU_DEP_1)
	v_cmpx_gt_i64_e64 s[4:5], v[6:7]
	s_cbranch_execz .LBB0_31
; %bb.1:
	s_clause 0x2
	s_load_b128 s[8:11], s[0:1], 0x10
	s_load_b64 s[2:3], s[0:1], 0x20
	s_load_b64 s[4:5], s[0:1], 0x30
	v_lshlrev_b32_e32 v7, 2, v6
	s_load_b96 s[12:14], s[0:1], 0x40
	s_wait_kmcnt 0x0
	s_clause 0x1
	global_load_b64 v[2:3], v7, s[8:9]
	global_load_b64 v[4:5], v7, s[2:3]
	global_load_b32 v1, v6, s[4:5] scale_offset
	s_wait_xcnt 0x1
	s_mov_b32 s2, exec_lo
	s_wait_loadcnt 0x2
	s_wait_xcnt 0x0
	v_cmpx_ge_i32_e64 v2, v3
	s_xor_b32 s2, exec_lo, s2
	s_delay_alu instid0(SALU_CYCLE_1)
	s_or_saveexec_b32 s2, s2
	v_subrev_nc_u32_e32 v7, s12, v2
	v_mov_b32_e32 v8, s6
	s_xor_b32 exec_lo, exec_lo, s2
	s_cbranch_execz .LBB0_3
; %bb.2:
	global_load_b32 v2, v7, s[10:11] scale_offset
	s_wait_loadcnt 0x0
	v_subrev_nc_u32_e32 v8, s12, v2
.LBB0_3:
	s_or_b32 exec_lo, exec_lo, s2
	s_load_b64 s[2:3], s[0:1], 0x28
	v_mov_b32_e32 v2, s6
	s_mov_b32 s4, exec_lo
	s_wait_loadcnt 0x1
	v_cmpx_ge_i32_e64 v4, v5
	s_xor_b32 s4, exec_lo, s4
; %bb.4:
	v_mov_b32_e32 v2, s6
; %bb.5:
	s_or_saveexec_b32 s8, s4
	s_load_b64 s[4:5], s[0:1], 0x38
	v_subrev_nc_u32_e32 v9, s13, v4
	s_delay_alu instid0(VALU_DEP_2)
	v_mov_b32_e32 v10, v2
	s_xor_b32 exec_lo, exec_lo, s8
	s_cbranch_execz .LBB0_7
; %bb.6:
	s_wait_kmcnt 0x0
	global_load_b32 v4, v9, s[2:3] scale_offset
	s_wait_loadcnt 0x0
	v_subrev_nc_u32_e32 v10, s13, v4
.LBB0_7:
	s_or_b32 exec_lo, exec_lo, s8
	v_mbcnt_lo_u32_b32 v11, -1, 0
	v_and_b32_e32 v16, 31, v0
	s_wait_loadcnt 0x0
	v_subrev_nc_u32_e32 v6, s14, v1
	v_bitop3_b32 v1, v0, 31, v0 bitop3:0xc
	v_and_b32_e32 v4, 0xe0, v0
	v_xor_b32_e32 v12, 16, v11
	v_xor_b32_e32 v14, 2, v11
	;; [unrolled: 1-line block ×3, first 2 shown]
	v_min_i32_e32 v0, v10, v8
	v_add_nc_u32_e32 v8, v9, v16
	v_lshrrev_b32_e64 v9, v1, -1
	v_cmp_gt_i32_e32 vcc_lo, 32, v12
	v_xor_b32_e32 v1, 8, v11
	v_subrev_nc_u32_e32 v3, s12, v3
	v_subrev_nc_u32_e32 v5, s13, v5
	v_dual_mov_b32 v18, 1 :: v_dual_cndmask_b32 v12, v11, v12, vcc_lo
	s_delay_alu instid0(VALU_DEP_4)
	v_cmp_gt_i32_e32 vcc_lo, 32, v1
	s_wait_xcnt 0x0
	s_mov_b32 s1, 0
	v_dual_mov_b32 v17, 0 :: v_dual_cndmask_b32 v1, v11, v1, vcc_lo
	v_cmp_gt_i32_e32 vcc_lo, 32, v13
	v_dual_add_nc_u32 v7, v7, v16 :: v_dual_bitop2_b32 v15, 1, v11 bitop3:0x14
	v_dual_add_nc_u32 v10, s14, v16 :: v_dual_add_nc_u32 v16, v4, v16
	v_cndmask_b32_e32 v13, v11, v13, vcc_lo
	v_cmp_gt_i32_e32 vcc_lo, 32, v14
	s_delay_alu instid0(VALU_DEP_2) | instskip(SKIP_2) | instid1(VALU_DEP_3)
	v_dual_cndmask_b32 v14, v11, v14 :: v_dual_lshlrev_b32 v13, 2, v13
	v_cmp_gt_i32_e32 vcc_lo, 32, v15
	v_dual_cndmask_b32 v15, v11, v15, vcc_lo :: v_dual_lshlrev_b32 v11, 2, v12
	v_dual_lshlrev_b32 v12, 2, v1 :: v_dual_lshlrev_b32 v14, 2, v14
	s_delay_alu instid0(VALU_DEP_2)
	v_lshlrev_b32_e32 v15, 2, v15
	s_branch .LBB0_9
.LBB0_8:                                ;   in Loop: Header=BB0_9 Depth=1
	s_wait_xcnt 0x0
	s_or_b32 exec_lo, exec_lo, s8
	ds_bpermute_b32 v0, v11, v1
	s_bcnt1_i32_b32 s8, vcc_lo
	s_wait_dscnt 0x0
	v_dual_add_nc_u32 v6, s8, v6 :: v_dual_min_i32 v0, v0, v1
	ds_bpermute_b32 v1, v12, v0
	s_wait_dscnt 0x0
	v_min_i32_e32 v0, v1, v0
	ds_bpermute_b32 v1, v13, v0
	s_wait_dscnt 0x0
	v_min_i32_e32 v0, v1, v0
	;; [unrolled: 3-line block ×4, first 2 shown]
	s_delay_alu instid0(VALU_DEP_1) | instskip(NEXT) | instid1(VALU_DEP_1)
	v_ashrrev_i32_e32 v1, 31, v0
	v_cmp_le_i64_e64 s0, s[6:7], v[0:1]
	s_or_b32 s1, s0, s1
	s_delay_alu instid0(SALU_CYCLE_1)
	s_and_not1_b32 exec_lo, exec_lo, s1
	s_cbranch_execz .LBB0_31
.LBB0_9:                                ; =>This Loop Header: Depth=1
                                        ;     Child Loop BB0_12 Depth 2
                                        ;     Child Loop BB0_22 Depth 2
	v_mov_b32_e32 v1, v2
	s_mov_b32 s8, exec_lo
	ds_store_b8 v16, v17
	s_wait_dscnt 0x0
	v_cmpx_lt_i32_e64 v7, v3
	s_cbranch_execz .LBB0_19
; %bb.10:                               ;   in Loop: Header=BB0_9 Depth=1
	v_mov_b32_e32 v1, v2
	s_mov_b32 s9, 0
	s_branch .LBB0_12
.LBB0_11:                               ;   in Loop: Header=BB0_12 Depth=2
	s_or_b32 exec_lo, exec_lo, s14
	s_delay_alu instid0(SALU_CYCLE_1) | instskip(NEXT) | instid1(SALU_CYCLE_1)
	s_and_b32 s0, exec_lo, s0
	s_or_b32 s9, s0, s9
	s_delay_alu instid0(SALU_CYCLE_1)
	s_and_not1_b32 exec_lo, exec_lo, s9
	s_cbranch_execz .LBB0_18
.LBB0_12:                               ;   Parent Loop BB0_9 Depth=1
                                        ; =>  This Inner Loop Header: Depth=2
	global_load_b32 v19, v7, s[10:11] scale_offset
	s_wait_loadcnt 0x0
	v_subrev_nc_u32_e32 v20, s12, v19
	s_delay_alu instid0(VALU_DEP_1) | instskip(NEXT) | instid1(VALU_DEP_1)
	v_sub_nc_u32_e32 v19, v20, v0
	v_cmp_lt_u32_e64 s0, 31, v19
	v_cmp_gt_u32_e32 vcc_lo, 32, v19
	s_wait_xcnt 0x0
	s_and_saveexec_b32 s14, s0
	s_delay_alu instid0(SALU_CYCLE_1)
	s_xor_b32 s0, exec_lo, s14
	s_cbranch_execnz .LBB0_15
; %bb.13:                               ;   in Loop: Header=BB0_12 Depth=2
	s_and_not1_saveexec_b32 s0, s0
	s_cbranch_execnz .LBB0_16
.LBB0_14:                               ;   in Loop: Header=BB0_12 Depth=2
	s_or_b32 exec_lo, exec_lo, s0
	s_mov_b32 s0, -1
	s_and_saveexec_b32 s14, vcc_lo
	s_cbranch_execz .LBB0_11
	s_branch .LBB0_17
.LBB0_15:                               ;   in Loop: Header=BB0_12 Depth=2
	v_min_i32_e32 v1, v20, v1
                                        ; implicit-def: $vgpr19
	s_and_not1_saveexec_b32 s0, s0
	s_cbranch_execz .LBB0_14
.LBB0_16:                               ;   in Loop: Header=BB0_12 Depth=2
	v_add_nc_u32_e32 v19, v4, v19
	ds_store_b8 v19, v18
	s_or_b32 exec_lo, exec_lo, s0
	s_mov_b32 s0, -1
	s_and_saveexec_b32 s14, vcc_lo
	s_cbranch_execz .LBB0_11
.LBB0_17:                               ;   in Loop: Header=BB0_12 Depth=2
	v_add_nc_u32_e32 v7, 32, v7
	s_delay_alu instid0(VALU_DEP_1)
	v_cmp_ge_i32_e32 vcc_lo, v7, v3
	s_or_not1_b32 s0, vcc_lo, exec_lo
	s_branch .LBB0_11
.LBB0_18:                               ;   in Loop: Header=BB0_9 Depth=1
	s_or_b32 exec_lo, exec_lo, s9
.LBB0_19:                               ;   in Loop: Header=BB0_9 Depth=1
	s_delay_alu instid0(SALU_CYCLE_1) | instskip(NEXT) | instid1(SALU_CYCLE_1)
	s_or_b32 exec_lo, exec_lo, s8
	s_mov_b32 s8, exec_lo
	s_wait_dscnt 0x0
	v_cmpx_lt_i32_e64 v8, v5
	s_cbranch_execz .LBB0_29
; %bb.20:                               ;   in Loop: Header=BB0_9 Depth=1
	s_mov_b32 s9, 0
	s_branch .LBB0_22
.LBB0_21:                               ;   in Loop: Header=BB0_22 Depth=2
	s_or_b32 exec_lo, exec_lo, s14
	s_delay_alu instid0(SALU_CYCLE_1) | instskip(NEXT) | instid1(SALU_CYCLE_1)
	s_and_b32 s0, exec_lo, s0
	s_or_b32 s9, s0, s9
	s_delay_alu instid0(SALU_CYCLE_1)
	s_and_not1_b32 exec_lo, exec_lo, s9
	s_cbranch_execz .LBB0_28
.LBB0_22:                               ;   Parent Loop BB0_9 Depth=1
                                        ; =>  This Inner Loop Header: Depth=2
	s_wait_kmcnt 0x0
	global_load_b32 v19, v8, s[2:3] scale_offset
	s_wait_loadcnt 0x0
	v_subrev_nc_u32_e32 v20, s13, v19
	s_delay_alu instid0(VALU_DEP_1) | instskip(NEXT) | instid1(VALU_DEP_1)
	v_sub_nc_u32_e32 v19, v20, v0
	v_cmp_lt_u32_e64 s0, 31, v19
	v_cmp_gt_u32_e32 vcc_lo, 32, v19
	s_wait_xcnt 0x0
	s_and_saveexec_b32 s14, s0
	s_delay_alu instid0(SALU_CYCLE_1)
	s_xor_b32 s0, exec_lo, s14
	s_cbranch_execnz .LBB0_25
; %bb.23:                               ;   in Loop: Header=BB0_22 Depth=2
	s_and_not1_saveexec_b32 s0, s0
	s_cbranch_execnz .LBB0_26
.LBB0_24:                               ;   in Loop: Header=BB0_22 Depth=2
	s_or_b32 exec_lo, exec_lo, s0
	s_mov_b32 s0, -1
	s_and_saveexec_b32 s14, vcc_lo
	s_cbranch_execz .LBB0_21
	s_branch .LBB0_27
.LBB0_25:                               ;   in Loop: Header=BB0_22 Depth=2
	v_min_i32_e32 v1, v20, v1
                                        ; implicit-def: $vgpr19
	s_and_not1_saveexec_b32 s0, s0
	s_cbranch_execz .LBB0_24
.LBB0_26:                               ;   in Loop: Header=BB0_22 Depth=2
	v_add_nc_u32_e32 v19, v4, v19
	ds_store_b8 v19, v18
	s_or_b32 exec_lo, exec_lo, s0
	s_mov_b32 s0, -1
	s_and_saveexec_b32 s14, vcc_lo
	s_cbranch_execz .LBB0_21
.LBB0_27:                               ;   in Loop: Header=BB0_22 Depth=2
	v_add_nc_u32_e32 v8, 32, v8
	s_delay_alu instid0(VALU_DEP_1)
	v_cmp_ge_i32_e32 vcc_lo, v8, v5
	s_or_not1_b32 s0, vcc_lo, exec_lo
	s_branch .LBB0_21
.LBB0_28:                               ;   in Loop: Header=BB0_9 Depth=1
	s_or_b32 exec_lo, exec_lo, s9
.LBB0_29:                               ;   in Loop: Header=BB0_9 Depth=1
	s_delay_alu instid0(SALU_CYCLE_1)
	s_or_b32 exec_lo, exec_lo, s8
	s_wait_dscnt 0x0
	ds_load_u8 v19, v16
	s_mov_b32 s8, exec_lo
	s_wait_dscnt 0x0
	v_and_b32_e32 v20, 1, v19
	v_cmp_ne_u16_e32 vcc_lo, 0, v19
	s_delay_alu instid0(VALU_DEP_2)
	v_cmpx_eq_u32_e32 1, v20
	s_cbranch_execz .LBB0_8
; %bb.30:                               ;   in Loop: Header=BB0_9 Depth=1
	v_dual_add_nc_u32 v0, v10, v0 :: v_dual_bitop2_b32 v19, vcc_lo, v9 bitop3:0x40
	s_delay_alu instid0(VALU_DEP_1) | instskip(NEXT) | instid1(VALU_DEP_1)
	v_bcnt_u32_b32 v19, v19, 0
	v_add3_u32 v19, v6, v19, -1
	s_wait_kmcnt 0x0
	global_store_b32 v19, v0, s[4:5] scale_offset
	s_branch .LBB0_8
.LBB0_31:
	s_endpgm
	.section	.rodata,"a",@progbits
	.p2align	6, 0x0
	.amdhsa_kernel _ZN9rocsparseL38csrgeam_fill_symbolic_multipass_kernelILj256ELj32EiiEEvllPKT1_PKT2_S3_S6_S3_PS4_21rocsparse_index_base_S8_S8_
		.amdhsa_group_segment_fixed_size 256
		.amdhsa_private_segment_fixed_size 0
		.amdhsa_kernarg_size 76
		.amdhsa_user_sgpr_count 2
		.amdhsa_user_sgpr_dispatch_ptr 0
		.amdhsa_user_sgpr_queue_ptr 0
		.amdhsa_user_sgpr_kernarg_segment_ptr 1
		.amdhsa_user_sgpr_dispatch_id 0
		.amdhsa_user_sgpr_kernarg_preload_length 0
		.amdhsa_user_sgpr_kernarg_preload_offset 0
		.amdhsa_user_sgpr_private_segment_size 0
		.amdhsa_wavefront_size32 1
		.amdhsa_uses_dynamic_stack 0
		.amdhsa_enable_private_segment 0
		.amdhsa_system_sgpr_workgroup_id_x 1
		.amdhsa_system_sgpr_workgroup_id_y 0
		.amdhsa_system_sgpr_workgroup_id_z 0
		.amdhsa_system_sgpr_workgroup_info 0
		.amdhsa_system_vgpr_workitem_id 0
		.amdhsa_next_free_vgpr 21
		.amdhsa_next_free_sgpr 15
		.amdhsa_named_barrier_count 0
		.amdhsa_reserve_vcc 1
		.amdhsa_float_round_mode_32 0
		.amdhsa_float_round_mode_16_64 0
		.amdhsa_float_denorm_mode_32 3
		.amdhsa_float_denorm_mode_16_64 3
		.amdhsa_fp16_overflow 0
		.amdhsa_memory_ordered 1
		.amdhsa_forward_progress 1
		.amdhsa_inst_pref_size 10
		.amdhsa_round_robin_scheduling 0
		.amdhsa_exception_fp_ieee_invalid_op 0
		.amdhsa_exception_fp_denorm_src 0
		.amdhsa_exception_fp_ieee_div_zero 0
		.amdhsa_exception_fp_ieee_overflow 0
		.amdhsa_exception_fp_ieee_underflow 0
		.amdhsa_exception_fp_ieee_inexact 0
		.amdhsa_exception_int_div_zero 0
	.end_amdhsa_kernel
	.section	.text._ZN9rocsparseL38csrgeam_fill_symbolic_multipass_kernelILj256ELj32EiiEEvllPKT1_PKT2_S3_S6_S3_PS4_21rocsparse_index_base_S8_S8_,"axG",@progbits,_ZN9rocsparseL38csrgeam_fill_symbolic_multipass_kernelILj256ELj32EiiEEvllPKT1_PKT2_S3_S6_S3_PS4_21rocsparse_index_base_S8_S8_,comdat
.Lfunc_end0:
	.size	_ZN9rocsparseL38csrgeam_fill_symbolic_multipass_kernelILj256ELj32EiiEEvllPKT1_PKT2_S3_S6_S3_PS4_21rocsparse_index_base_S8_S8_, .Lfunc_end0-_ZN9rocsparseL38csrgeam_fill_symbolic_multipass_kernelILj256ELj32EiiEEvllPKT1_PKT2_S3_S6_S3_PS4_21rocsparse_index_base_S8_S8_
                                        ; -- End function
	.set _ZN9rocsparseL38csrgeam_fill_symbolic_multipass_kernelILj256ELj32EiiEEvllPKT1_PKT2_S3_S6_S3_PS4_21rocsparse_index_base_S8_S8_.num_vgpr, 21
	.set _ZN9rocsparseL38csrgeam_fill_symbolic_multipass_kernelILj256ELj32EiiEEvllPKT1_PKT2_S3_S6_S3_PS4_21rocsparse_index_base_S8_S8_.num_agpr, 0
	.set _ZN9rocsparseL38csrgeam_fill_symbolic_multipass_kernelILj256ELj32EiiEEvllPKT1_PKT2_S3_S6_S3_PS4_21rocsparse_index_base_S8_S8_.numbered_sgpr, 15
	.set _ZN9rocsparseL38csrgeam_fill_symbolic_multipass_kernelILj256ELj32EiiEEvllPKT1_PKT2_S3_S6_S3_PS4_21rocsparse_index_base_S8_S8_.num_named_barrier, 0
	.set _ZN9rocsparseL38csrgeam_fill_symbolic_multipass_kernelILj256ELj32EiiEEvllPKT1_PKT2_S3_S6_S3_PS4_21rocsparse_index_base_S8_S8_.private_seg_size, 0
	.set _ZN9rocsparseL38csrgeam_fill_symbolic_multipass_kernelILj256ELj32EiiEEvllPKT1_PKT2_S3_S6_S3_PS4_21rocsparse_index_base_S8_S8_.uses_vcc, 1
	.set _ZN9rocsparseL38csrgeam_fill_symbolic_multipass_kernelILj256ELj32EiiEEvllPKT1_PKT2_S3_S6_S3_PS4_21rocsparse_index_base_S8_S8_.uses_flat_scratch, 0
	.set _ZN9rocsparseL38csrgeam_fill_symbolic_multipass_kernelILj256ELj32EiiEEvllPKT1_PKT2_S3_S6_S3_PS4_21rocsparse_index_base_S8_S8_.has_dyn_sized_stack, 0
	.set _ZN9rocsparseL38csrgeam_fill_symbolic_multipass_kernelILj256ELj32EiiEEvllPKT1_PKT2_S3_S6_S3_PS4_21rocsparse_index_base_S8_S8_.has_recursion, 0
	.set _ZN9rocsparseL38csrgeam_fill_symbolic_multipass_kernelILj256ELj32EiiEEvllPKT1_PKT2_S3_S6_S3_PS4_21rocsparse_index_base_S8_S8_.has_indirect_call, 0
	.section	.AMDGPU.csdata,"",@progbits
; Kernel info:
; codeLenInByte = 1244
; TotalNumSgprs: 17
; NumVgprs: 21
; ScratchSize: 0
; MemoryBound: 0
; FloatMode: 240
; IeeeMode: 1
; LDSByteSize: 256 bytes/workgroup (compile time only)
; SGPRBlocks: 0
; VGPRBlocks: 1
; NumSGPRsForWavesPerEU: 17
; NumVGPRsForWavesPerEU: 21
; NamedBarCnt: 0
; Occupancy: 16
; WaveLimiterHint : 1
; COMPUTE_PGM_RSRC2:SCRATCH_EN: 0
; COMPUTE_PGM_RSRC2:USER_SGPR: 2
; COMPUTE_PGM_RSRC2:TRAP_HANDLER: 0
; COMPUTE_PGM_RSRC2:TGID_X_EN: 1
; COMPUTE_PGM_RSRC2:TGID_Y_EN: 0
; COMPUTE_PGM_RSRC2:TGID_Z_EN: 0
; COMPUTE_PGM_RSRC2:TIDIG_COMP_CNT: 0
	.section	.text._ZN9rocsparseL38csrgeam_fill_symbolic_multipass_kernelILj256ELj64EiiEEvllPKT1_PKT2_S3_S6_S3_PS4_21rocsparse_index_base_S8_S8_,"axG",@progbits,_ZN9rocsparseL38csrgeam_fill_symbolic_multipass_kernelILj256ELj64EiiEEvllPKT1_PKT2_S3_S6_S3_PS4_21rocsparse_index_base_S8_S8_,comdat
	.globl	_ZN9rocsparseL38csrgeam_fill_symbolic_multipass_kernelILj256ELj64EiiEEvllPKT1_PKT2_S3_S6_S3_PS4_21rocsparse_index_base_S8_S8_ ; -- Begin function _ZN9rocsparseL38csrgeam_fill_symbolic_multipass_kernelILj256ELj64EiiEEvllPKT1_PKT2_S3_S6_S3_PS4_21rocsparse_index_base_S8_S8_
	.p2align	8
	.type	_ZN9rocsparseL38csrgeam_fill_symbolic_multipass_kernelILj256ELj64EiiEEvllPKT1_PKT2_S3_S6_S3_PS4_21rocsparse_index_base_S8_S8_,@function
_ZN9rocsparseL38csrgeam_fill_symbolic_multipass_kernelILj256ELj64EiiEEvllPKT1_PKT2_S3_S6_S3_PS4_21rocsparse_index_base_S8_S8_: ; @_ZN9rocsparseL38csrgeam_fill_symbolic_multipass_kernelILj256ELj64EiiEEvllPKT1_PKT2_S3_S6_S3_PS4_21rocsparse_index_base_S8_S8_
; %bb.0:
	s_load_b128 s[4:7], s[0:1], 0x0
	s_bfe_u32 s2, ttmp6, 0x4000c
	s_and_b32 s3, ttmp6, 15
	s_add_co_i32 s2, s2, 1
	s_getreg_b32 s8, hwreg(HW_REG_IB_STS2, 6, 4)
	s_mul_i32 s2, ttmp9, s2
	v_dual_lshrrev_b32 v1, 6, v0 :: v_dual_mov_b32 v7, 0
	s_add_co_i32 s3, s3, s2
	s_cmp_eq_u32 s8, 0
	s_cselect_b32 s2, ttmp9, s3
	s_delay_alu instid0(SALU_CYCLE_1) | instskip(NEXT) | instid1(SALU_CYCLE_1)
	s_lshl_b32 s2, s2, 2
	v_and_or_b32 v6, 0x3fffffc, s2, v1
	s_mov_b32 s2, exec_lo
	s_wait_kmcnt 0x0
	s_delay_alu instid0(VALU_DEP_1)
	v_cmpx_gt_i64_e64 s[4:5], v[6:7]
	s_cbranch_execz .LBB1_31
; %bb.1:
	s_clause 0x2
	s_load_b128 s[8:11], s[0:1], 0x10
	s_load_b64 s[2:3], s[0:1], 0x20
	s_load_b64 s[4:5], s[0:1], 0x30
	v_lshlrev_b32_e32 v7, 2, v6
	s_load_b96 s[12:14], s[0:1], 0x40
	s_wait_kmcnt 0x0
	s_clause 0x1
	global_load_b64 v[2:3], v7, s[8:9]
	global_load_b64 v[4:5], v7, s[2:3]
	global_load_b32 v1, v6, s[4:5] scale_offset
	s_wait_xcnt 0x1
	s_mov_b32 s2, exec_lo
	s_wait_loadcnt 0x2
	s_wait_xcnt 0x0
	v_cmpx_ge_i32_e64 v2, v3
	s_xor_b32 s2, exec_lo, s2
	s_delay_alu instid0(SALU_CYCLE_1)
	s_or_saveexec_b32 s2, s2
	v_subrev_nc_u32_e32 v9, s12, v2
	v_mov_b32_e32 v2, s6
	s_xor_b32 exec_lo, exec_lo, s2
	s_cbranch_execz .LBB1_3
; %bb.2:
	global_load_b32 v2, v9, s[10:11] scale_offset
	s_wait_loadcnt 0x0
	v_subrev_nc_u32_e32 v2, s12, v2
.LBB1_3:
	s_or_b32 exec_lo, exec_lo, s2
	s_load_b64 s[2:3], s[0:1], 0x28
	v_mov_b32_e32 v6, s6
	s_mov_b32 s4, exec_lo
	s_wait_loadcnt 0x1
	v_cmpx_ge_i32_e64 v4, v5
	s_xor_b32 s4, exec_lo, s4
; %bb.4:
	v_mov_b32_e32 v6, s6
; %bb.5:
	s_or_saveexec_b32 s8, s4
	s_load_b64 s[4:5], s[0:1], 0x38
	v_subrev_nc_u32_e32 v10, s13, v4
	s_delay_alu instid0(VALU_DEP_2)
	v_mov_b32_e32 v11, v6
	s_xor_b32 exec_lo, exec_lo, s8
	s_cbranch_execz .LBB1_7
; %bb.6:
	s_wait_kmcnt 0x0
	global_load_b32 v4, v10, s[2:3] scale_offset
	s_wait_loadcnt 0x0
	v_subrev_nc_u32_e32 v11, s13, v4
.LBB1_7:
	s_or_b32 exec_lo, exec_lo, s8
	v_mbcnt_lo_u32_b32 v12, -1, 0
	v_and_b32_e32 v4, 0xc0, v0
	v_subrev_nc_u32_e32 v7, s12, v3
	s_wait_loadcnt 0x0
	v_subrev_nc_u32_e32 v8, s14, v1
	v_subrev_nc_u32_e32 v5, s13, v5
	v_dual_mov_b32 v18, 0 :: v_dual_bitop2_b32 v13, 32, v12 bitop3:0x54
	v_mov_b32_e32 v19, 1
	s_wait_xcnt 0x0
	s_mov_b32 s1, 0
	v_xor_b32_e32 v14, 8, v12
	v_cmp_gt_i32_e32 vcc_lo, 32, v13
	v_and_b32_e32 v3, 63, v0
	v_bitop3_b32 v0, v0, 63, v0 bitop3:0xc
	v_min_i32_e32 v2, v11, v2
	v_dual_cndmask_b32 v11, v12, v13, vcc_lo :: v_dual_bitop2_b32 v15, 4, v12 bitop3:0x14
	v_xor_b32_e32 v13, 16, v12
	s_delay_alu instid0(VALU_DEP_4) | instskip(SKIP_1) | instid1(VALU_DEP_4)
	v_lshrrev_b64 v[0:1], v0, -1
	v_dual_add_nc_u32 v1, s14, v3 :: v_dual_add_nc_u32 v9, v9, v3
	v_lshlrev_b32_e32 v11, 2, v11
	s_delay_alu instid0(VALU_DEP_4)
	v_cmp_gt_i32_e32 vcc_lo, 32, v13
	v_dual_cndmask_b32 v13, v12, v13 :: v_dual_add_nc_u32 v10, v10, v3
	v_cmp_gt_i32_e32 vcc_lo, 32, v14
	v_dual_cndmask_b32 v14, v12, v14, vcc_lo :: v_dual_bitop2_b32 v16, 2, v12 bitop3:0x14
	v_cmp_gt_i32_e32 vcc_lo, 32, v15
	v_dual_cndmask_b32 v15, v12, v15, vcc_lo :: v_dual_bitop2_b32 v17, 1, v12 bitop3:0x14
	s_delay_alu instid0(VALU_DEP_3) | instskip(SKIP_1) | instid1(VALU_DEP_3)
	v_cmp_gt_i32_e32 vcc_lo, 32, v16
	v_cndmask_b32_e32 v16, v12, v16, vcc_lo
	v_cmp_gt_i32_e32 vcc_lo, 32, v17
	v_cndmask_b32_e32 v17, v12, v17, vcc_lo
	v_dual_lshlrev_b32 v12, 2, v13 :: v_dual_lshlrev_b32 v13, 2, v14
	s_delay_alu instid0(VALU_DEP_4) | instskip(NEXT) | instid1(VALU_DEP_3)
	v_dual_lshlrev_b32 v14, 2, v15 :: v_dual_lshlrev_b32 v15, 2, v16
	v_dual_lshlrev_b32 v16, 2, v17 :: v_dual_add_nc_u32 v17, v4, v3
	s_branch .LBB1_9
.LBB1_8:                                ;   in Loop: Header=BB1_9 Depth=1
	s_wait_xcnt 0x0
	s_or_b32 exec_lo, exec_lo, s8
	ds_bpermute_b32 v2, v11, v3
	s_bcnt1_i32_b32 s8, vcc_lo
	s_wait_dscnt 0x0
	v_dual_add_nc_u32 v8, s8, v8 :: v_dual_min_i32 v2, v2, v3
	ds_bpermute_b32 v3, v12, v2
	s_wait_dscnt 0x0
	v_min_i32_e32 v2, v3, v2
	ds_bpermute_b32 v3, v13, v2
	s_wait_dscnt 0x0
	v_min_i32_e32 v2, v3, v2
	;; [unrolled: 3-line block ×5, first 2 shown]
	s_delay_alu instid0(VALU_DEP_1) | instskip(NEXT) | instid1(VALU_DEP_1)
	v_ashrrev_i32_e32 v3, 31, v2
	v_cmp_le_i64_e64 s0, s[6:7], v[2:3]
	s_or_b32 s1, s0, s1
	s_delay_alu instid0(SALU_CYCLE_1)
	s_and_not1_b32 exec_lo, exec_lo, s1
	s_cbranch_execz .LBB1_31
.LBB1_9:                                ; =>This Loop Header: Depth=1
                                        ;     Child Loop BB1_12 Depth 2
                                        ;     Child Loop BB1_22 Depth 2
	v_mov_b32_e32 v3, v6
	s_mov_b32 s8, exec_lo
	ds_store_b8 v17, v18
	s_wait_dscnt 0x0
	v_cmpx_lt_i32_e64 v9, v7
	s_cbranch_execz .LBB1_19
; %bb.10:                               ;   in Loop: Header=BB1_9 Depth=1
	v_mov_b32_e32 v3, v6
	s_mov_b32 s9, 0
	s_branch .LBB1_12
.LBB1_11:                               ;   in Loop: Header=BB1_12 Depth=2
	s_or_b32 exec_lo, exec_lo, s14
	s_delay_alu instid0(SALU_CYCLE_1) | instskip(NEXT) | instid1(SALU_CYCLE_1)
	s_and_b32 s0, exec_lo, s0
	s_or_b32 s9, s0, s9
	s_delay_alu instid0(SALU_CYCLE_1)
	s_and_not1_b32 exec_lo, exec_lo, s9
	s_cbranch_execz .LBB1_18
.LBB1_12:                               ;   Parent Loop BB1_9 Depth=1
                                        ; =>  This Inner Loop Header: Depth=2
	global_load_b32 v20, v9, s[10:11] scale_offset
	s_wait_loadcnt 0x0
	v_subrev_nc_u32_e32 v21, s12, v20
	s_delay_alu instid0(VALU_DEP_1) | instskip(NEXT) | instid1(VALU_DEP_1)
	v_sub_nc_u32_e32 v20, v21, v2
	v_cmp_lt_u32_e64 s0, 63, v20
	v_cmp_gt_u32_e32 vcc_lo, 64, v20
	s_wait_xcnt 0x0
	s_and_saveexec_b32 s14, s0
	s_delay_alu instid0(SALU_CYCLE_1)
	s_xor_b32 s0, exec_lo, s14
	s_cbranch_execnz .LBB1_15
; %bb.13:                               ;   in Loop: Header=BB1_12 Depth=2
	s_and_not1_saveexec_b32 s0, s0
	s_cbranch_execnz .LBB1_16
.LBB1_14:                               ;   in Loop: Header=BB1_12 Depth=2
	s_or_b32 exec_lo, exec_lo, s0
	s_mov_b32 s0, -1
	s_and_saveexec_b32 s14, vcc_lo
	s_cbranch_execz .LBB1_11
	s_branch .LBB1_17
.LBB1_15:                               ;   in Loop: Header=BB1_12 Depth=2
	v_min_i32_e32 v3, v21, v3
                                        ; implicit-def: $vgpr20
	s_and_not1_saveexec_b32 s0, s0
	s_cbranch_execz .LBB1_14
.LBB1_16:                               ;   in Loop: Header=BB1_12 Depth=2
	v_add_nc_u32_e32 v20, v4, v20
	ds_store_b8 v20, v19
	s_or_b32 exec_lo, exec_lo, s0
	s_mov_b32 s0, -1
	s_and_saveexec_b32 s14, vcc_lo
	s_cbranch_execz .LBB1_11
.LBB1_17:                               ;   in Loop: Header=BB1_12 Depth=2
	v_add_nc_u32_e32 v9, 64, v9
	s_delay_alu instid0(VALU_DEP_1)
	v_cmp_ge_i32_e32 vcc_lo, v9, v7
	s_or_not1_b32 s0, vcc_lo, exec_lo
	s_branch .LBB1_11
.LBB1_18:                               ;   in Loop: Header=BB1_9 Depth=1
	s_or_b32 exec_lo, exec_lo, s9
.LBB1_19:                               ;   in Loop: Header=BB1_9 Depth=1
	s_delay_alu instid0(SALU_CYCLE_1) | instskip(NEXT) | instid1(SALU_CYCLE_1)
	s_or_b32 exec_lo, exec_lo, s8
	s_mov_b32 s8, exec_lo
	s_wait_dscnt 0x0
	v_cmpx_lt_i32_e64 v10, v5
	s_cbranch_execz .LBB1_29
; %bb.20:                               ;   in Loop: Header=BB1_9 Depth=1
	s_mov_b32 s9, 0
	s_branch .LBB1_22
.LBB1_21:                               ;   in Loop: Header=BB1_22 Depth=2
	s_or_b32 exec_lo, exec_lo, s14
	s_delay_alu instid0(SALU_CYCLE_1) | instskip(NEXT) | instid1(SALU_CYCLE_1)
	s_and_b32 s0, exec_lo, s0
	s_or_b32 s9, s0, s9
	s_delay_alu instid0(SALU_CYCLE_1)
	s_and_not1_b32 exec_lo, exec_lo, s9
	s_cbranch_execz .LBB1_28
.LBB1_22:                               ;   Parent Loop BB1_9 Depth=1
                                        ; =>  This Inner Loop Header: Depth=2
	s_wait_kmcnt 0x0
	global_load_b32 v20, v10, s[2:3] scale_offset
	s_wait_loadcnt 0x0
	v_subrev_nc_u32_e32 v21, s13, v20
	s_delay_alu instid0(VALU_DEP_1) | instskip(NEXT) | instid1(VALU_DEP_1)
	v_sub_nc_u32_e32 v20, v21, v2
	v_cmp_lt_u32_e64 s0, 63, v20
	v_cmp_gt_u32_e32 vcc_lo, 64, v20
	s_wait_xcnt 0x0
	s_and_saveexec_b32 s14, s0
	s_delay_alu instid0(SALU_CYCLE_1)
	s_xor_b32 s0, exec_lo, s14
	s_cbranch_execnz .LBB1_25
; %bb.23:                               ;   in Loop: Header=BB1_22 Depth=2
	s_and_not1_saveexec_b32 s0, s0
	s_cbranch_execnz .LBB1_26
.LBB1_24:                               ;   in Loop: Header=BB1_22 Depth=2
	s_or_b32 exec_lo, exec_lo, s0
	s_mov_b32 s0, -1
	s_and_saveexec_b32 s14, vcc_lo
	s_cbranch_execz .LBB1_21
	s_branch .LBB1_27
.LBB1_25:                               ;   in Loop: Header=BB1_22 Depth=2
	v_min_i32_e32 v3, v21, v3
                                        ; implicit-def: $vgpr20
	s_and_not1_saveexec_b32 s0, s0
	s_cbranch_execz .LBB1_24
.LBB1_26:                               ;   in Loop: Header=BB1_22 Depth=2
	v_add_nc_u32_e32 v20, v4, v20
	ds_store_b8 v20, v19
	s_or_b32 exec_lo, exec_lo, s0
	s_mov_b32 s0, -1
	s_and_saveexec_b32 s14, vcc_lo
	s_cbranch_execz .LBB1_21
.LBB1_27:                               ;   in Loop: Header=BB1_22 Depth=2
	v_add_nc_u32_e32 v10, 64, v10
	s_delay_alu instid0(VALU_DEP_1)
	v_cmp_ge_i32_e32 vcc_lo, v10, v5
	s_or_not1_b32 s0, vcc_lo, exec_lo
	s_branch .LBB1_21
.LBB1_28:                               ;   in Loop: Header=BB1_9 Depth=1
	s_or_b32 exec_lo, exec_lo, s9
.LBB1_29:                               ;   in Loop: Header=BB1_9 Depth=1
	s_delay_alu instid0(SALU_CYCLE_1)
	s_or_b32 exec_lo, exec_lo, s8
	s_wait_dscnt 0x0
	ds_load_u8 v20, v17
	s_mov_b32 s8, exec_lo
	s_wait_dscnt 0x0
	v_and_b32_e32 v21, 1, v20
	v_cmp_ne_u16_e32 vcc_lo, 0, v20
	s_delay_alu instid0(VALU_DEP_2)
	v_cmpx_eq_u32_e32 1, v21
	s_cbranch_execz .LBB1_8
; %bb.30:                               ;   in Loop: Header=BB1_9 Depth=1
	v_dual_add_nc_u32 v2, v1, v2 :: v_dual_bitop2_b32 v20, vcc_lo, v0 bitop3:0x40
	s_delay_alu instid0(VALU_DEP_1) | instskip(NEXT) | instid1(VALU_DEP_1)
	v_bcnt_u32_b32 v20, v20, 0
	v_add3_u32 v20, v8, v20, -1
	s_wait_kmcnt 0x0
	global_store_b32 v20, v2, s[4:5] scale_offset
	s_branch .LBB1_8
.LBB1_31:
	s_endpgm
	.section	.rodata,"a",@progbits
	.p2align	6, 0x0
	.amdhsa_kernel _ZN9rocsparseL38csrgeam_fill_symbolic_multipass_kernelILj256ELj64EiiEEvllPKT1_PKT2_S3_S6_S3_PS4_21rocsparse_index_base_S8_S8_
		.amdhsa_group_segment_fixed_size 256
		.amdhsa_private_segment_fixed_size 0
		.amdhsa_kernarg_size 76
		.amdhsa_user_sgpr_count 2
		.amdhsa_user_sgpr_dispatch_ptr 0
		.amdhsa_user_sgpr_queue_ptr 0
		.amdhsa_user_sgpr_kernarg_segment_ptr 1
		.amdhsa_user_sgpr_dispatch_id 0
		.amdhsa_user_sgpr_kernarg_preload_length 0
		.amdhsa_user_sgpr_kernarg_preload_offset 0
		.amdhsa_user_sgpr_private_segment_size 0
		.amdhsa_wavefront_size32 1
		.amdhsa_uses_dynamic_stack 0
		.amdhsa_enable_private_segment 0
		.amdhsa_system_sgpr_workgroup_id_x 1
		.amdhsa_system_sgpr_workgroup_id_y 0
		.amdhsa_system_sgpr_workgroup_id_z 0
		.amdhsa_system_sgpr_workgroup_info 0
		.amdhsa_system_vgpr_workitem_id 0
		.amdhsa_next_free_vgpr 22
		.amdhsa_next_free_sgpr 15
		.amdhsa_named_barrier_count 0
		.amdhsa_reserve_vcc 1
		.amdhsa_float_round_mode_32 0
		.amdhsa_float_round_mode_16_64 0
		.amdhsa_float_denorm_mode_32 3
		.amdhsa_float_denorm_mode_16_64 3
		.amdhsa_fp16_overflow 0
		.amdhsa_memory_ordered 1
		.amdhsa_forward_progress 1
		.amdhsa_inst_pref_size 11
		.amdhsa_round_robin_scheduling 0
		.amdhsa_exception_fp_ieee_invalid_op 0
		.amdhsa_exception_fp_denorm_src 0
		.amdhsa_exception_fp_ieee_div_zero 0
		.amdhsa_exception_fp_ieee_overflow 0
		.amdhsa_exception_fp_ieee_underflow 0
		.amdhsa_exception_fp_ieee_inexact 0
		.amdhsa_exception_int_div_zero 0
	.end_amdhsa_kernel
	.section	.text._ZN9rocsparseL38csrgeam_fill_symbolic_multipass_kernelILj256ELj64EiiEEvllPKT1_PKT2_S3_S6_S3_PS4_21rocsparse_index_base_S8_S8_,"axG",@progbits,_ZN9rocsparseL38csrgeam_fill_symbolic_multipass_kernelILj256ELj64EiiEEvllPKT1_PKT2_S3_S6_S3_PS4_21rocsparse_index_base_S8_S8_,comdat
.Lfunc_end1:
	.size	_ZN9rocsparseL38csrgeam_fill_symbolic_multipass_kernelILj256ELj64EiiEEvllPKT1_PKT2_S3_S6_S3_PS4_21rocsparse_index_base_S8_S8_, .Lfunc_end1-_ZN9rocsparseL38csrgeam_fill_symbolic_multipass_kernelILj256ELj64EiiEEvllPKT1_PKT2_S3_S6_S3_PS4_21rocsparse_index_base_S8_S8_
                                        ; -- End function
	.set _ZN9rocsparseL38csrgeam_fill_symbolic_multipass_kernelILj256ELj64EiiEEvllPKT1_PKT2_S3_S6_S3_PS4_21rocsparse_index_base_S8_S8_.num_vgpr, 22
	.set _ZN9rocsparseL38csrgeam_fill_symbolic_multipass_kernelILj256ELj64EiiEEvllPKT1_PKT2_S3_S6_S3_PS4_21rocsparse_index_base_S8_S8_.num_agpr, 0
	.set _ZN9rocsparseL38csrgeam_fill_symbolic_multipass_kernelILj256ELj64EiiEEvllPKT1_PKT2_S3_S6_S3_PS4_21rocsparse_index_base_S8_S8_.numbered_sgpr, 15
	.set _ZN9rocsparseL38csrgeam_fill_symbolic_multipass_kernelILj256ELj64EiiEEvllPKT1_PKT2_S3_S6_S3_PS4_21rocsparse_index_base_S8_S8_.num_named_barrier, 0
	.set _ZN9rocsparseL38csrgeam_fill_symbolic_multipass_kernelILj256ELj64EiiEEvllPKT1_PKT2_S3_S6_S3_PS4_21rocsparse_index_base_S8_S8_.private_seg_size, 0
	.set _ZN9rocsparseL38csrgeam_fill_symbolic_multipass_kernelILj256ELj64EiiEEvllPKT1_PKT2_S3_S6_S3_PS4_21rocsparse_index_base_S8_S8_.uses_vcc, 1
	.set _ZN9rocsparseL38csrgeam_fill_symbolic_multipass_kernelILj256ELj64EiiEEvllPKT1_PKT2_S3_S6_S3_PS4_21rocsparse_index_base_S8_S8_.uses_flat_scratch, 0
	.set _ZN9rocsparseL38csrgeam_fill_symbolic_multipass_kernelILj256ELj64EiiEEvllPKT1_PKT2_S3_S6_S3_PS4_21rocsparse_index_base_S8_S8_.has_dyn_sized_stack, 0
	.set _ZN9rocsparseL38csrgeam_fill_symbolic_multipass_kernelILj256ELj64EiiEEvllPKT1_PKT2_S3_S6_S3_PS4_21rocsparse_index_base_S8_S8_.has_recursion, 0
	.set _ZN9rocsparseL38csrgeam_fill_symbolic_multipass_kernelILj256ELj64EiiEEvllPKT1_PKT2_S3_S6_S3_PS4_21rocsparse_index_base_S8_S8_.has_indirect_call, 0
	.section	.AMDGPU.csdata,"",@progbits
; Kernel info:
; codeLenInByte = 1288
; TotalNumSgprs: 17
; NumVgprs: 22
; ScratchSize: 0
; MemoryBound: 0
; FloatMode: 240
; IeeeMode: 1
; LDSByteSize: 256 bytes/workgroup (compile time only)
; SGPRBlocks: 0
; VGPRBlocks: 1
; NumSGPRsForWavesPerEU: 17
; NumVGPRsForWavesPerEU: 22
; NamedBarCnt: 0
; Occupancy: 16
; WaveLimiterHint : 1
; COMPUTE_PGM_RSRC2:SCRATCH_EN: 0
; COMPUTE_PGM_RSRC2:USER_SGPR: 2
; COMPUTE_PGM_RSRC2:TRAP_HANDLER: 0
; COMPUTE_PGM_RSRC2:TGID_X_EN: 1
; COMPUTE_PGM_RSRC2:TGID_Y_EN: 0
; COMPUTE_PGM_RSRC2:TGID_Z_EN: 0
; COMPUTE_PGM_RSRC2:TIDIG_COMP_CNT: 0
	.section	.text._ZN9rocsparseL38csrgeam_fill_symbolic_multipass_kernelILj256ELj32EliEEvllPKT1_PKT2_S3_S6_S3_PS4_21rocsparse_index_base_S8_S8_,"axG",@progbits,_ZN9rocsparseL38csrgeam_fill_symbolic_multipass_kernelILj256ELj32EliEEvllPKT1_PKT2_S3_S6_S3_PS4_21rocsparse_index_base_S8_S8_,comdat
	.globl	_ZN9rocsparseL38csrgeam_fill_symbolic_multipass_kernelILj256ELj32EliEEvllPKT1_PKT2_S3_S6_S3_PS4_21rocsparse_index_base_S8_S8_ ; -- Begin function _ZN9rocsparseL38csrgeam_fill_symbolic_multipass_kernelILj256ELj32EliEEvllPKT1_PKT2_S3_S6_S3_PS4_21rocsparse_index_base_S8_S8_
	.p2align	8
	.type	_ZN9rocsparseL38csrgeam_fill_symbolic_multipass_kernelILj256ELj32EliEEvllPKT1_PKT2_S3_S6_S3_PS4_21rocsparse_index_base_S8_S8_,@function
_ZN9rocsparseL38csrgeam_fill_symbolic_multipass_kernelILj256ELj32EliEEvllPKT1_PKT2_S3_S6_S3_PS4_21rocsparse_index_base_S8_S8_: ; @_ZN9rocsparseL38csrgeam_fill_symbolic_multipass_kernelILj256ELj32EliEEvllPKT1_PKT2_S3_S6_S3_PS4_21rocsparse_index_base_S8_S8_
; %bb.0:
	s_load_b128 s[4:7], s[0:1], 0x0
	s_bfe_u32 s2, ttmp6, 0x4000c
	s_and_b32 s3, ttmp6, 15
	s_add_co_i32 s2, s2, 1
	s_getreg_b32 s8, hwreg(HW_REG_IB_STS2, 6, 4)
	s_mul_i32 s2, ttmp9, s2
	v_dual_lshrrev_b32 v1, 5, v0 :: v_dual_mov_b32 v13, 0
	s_add_co_i32 s3, s3, s2
	s_cmp_eq_u32 s8, 0
	s_mov_b32 s15, 0
	s_cselect_b32 s2, ttmp9, s3
	s_delay_alu instid0(SALU_CYCLE_1) | instskip(NEXT) | instid1(SALU_CYCLE_1)
	s_lshl_b32 s2, s2, 3
	v_and_or_b32 v12, 0x7fffff8, s2, v1
	s_mov_b32 s2, exec_lo
	s_wait_kmcnt 0x0
	s_delay_alu instid0(VALU_DEP_1)
	v_cmpx_gt_i64_e64 s[4:5], v[12:13]
	s_cbranch_execz .LBB2_31
; %bb.1:
	s_clause 0x2
	s_load_b64 s[2:3], s[0:1], 0x10
	s_load_b64 s[4:5], s[0:1], 0x20
	;; [unrolled: 1-line block ×3, first 2 shown]
	v_lshlrev_b32_e32 v1, 3, v12
	s_wait_kmcnt 0x0
	s_clause 0x1
	global_load_b128 v[2:5], v1, s[2:3]
	global_load_b128 v[6:9], v1, s[4:5]
	global_load_b64 v[10:11], v12, s[8:9] scale_offset
	s_wait_xcnt 0x0
	s_load_b96 s[8:10], s[0:1], 0x40
	s_mov_b32 s2, exec_lo
	s_wait_kmcnt 0x0
	s_mov_b32 s14, s8
	s_wait_loadcnt 0x2
	v_cmpx_ge_i64_e64 v[2:3], v[4:5]
	s_xor_b32 s2, exec_lo, s2
	s_delay_alu instid0(SALU_CYCLE_1)
	s_or_saveexec_b32 s4, s2
	s_load_b64 s[2:3], s[0:1], 0x18
	v_sub_nc_u64_e64 v[14:15], v[2:3], s[14:15]
	v_mov_b32_e32 v1, s6
	s_xor_b32 exec_lo, exec_lo, s4
	s_cbranch_execz .LBB2_3
; %bb.2:
	s_wait_kmcnt 0x0
	s_delay_alu instid0(VALU_DEP_2)
	v_lshl_add_u64 v[2:3], v[14:15], 2, s[2:3]
	global_load_b32 v1, v[2:3], off
	s_wait_loadcnt 0x0
	v_subrev_nc_u32_e32 v1, s8, v1
.LBB2_3:
	s_or_b32 exec_lo, exec_lo, s4
	v_mov_b32_e32 v18, s6
	s_mov_b32 s17, 0
	s_mov_b32 s16, s9
	s_mov_b32 s4, exec_lo
	s_wait_loadcnt 0x1
	v_cmpx_ge_i64_e64 v[6:7], v[8:9]
	s_xor_b32 s4, exec_lo, s4
; %bb.4:
	v_mov_b32_e32 v18, s6
; %bb.5:
	s_or_saveexec_b32 s11, s4
	s_load_b64 s[4:5], s[0:1], 0x28
	v_sub_nc_u64_e64 v[16:17], v[6:7], s[16:17]
	s_delay_alu instid0(VALU_DEP_2)
	v_mov_b32_e32 v12, v18
	s_xor_b32 exec_lo, exec_lo, s11
	s_cbranch_execz .LBB2_7
; %bb.6:
	s_wait_kmcnt 0x0
	s_delay_alu instid0(VALU_DEP_2)
	v_lshl_add_u64 v[2:3], v[16:17], 2, s[4:5]
	global_load_b32 v2, v[2:3], off
	s_wait_loadcnt 0x0
	v_subrev_nc_u32_e32 v12, s9, v2
.LBB2_7:
	s_or_b32 exec_lo, exec_lo, s11
	v_dual_mov_b32 v7, 0 :: v_dual_bitop2_b32 v6, 31, v0 bitop3:0x40
	v_mbcnt_lo_u32_b32 v13, -1, 0
	v_and_b32_e32 v19, 0xe0, v0
	v_bitop3_b32 v20, v0, 31, v0 bitop3:0xc
	v_min_i32_e32 v12, v12, v1
	v_add_nc_u64_e32 v[0:1], v[14:15], v[6:7]
	v_xor_b32_e32 v15, 8, v13
	v_xor_b32_e32 v14, 16, v13
	v_sub_nc_u64_e64 v[2:3], v[4:5], s[14:15]
	s_mov_b32 s14, s10
	v_sub_nc_u64_e64 v[4:5], v[8:9], s[16:17]
	s_wait_loadcnt 0x0
	v_sub_nc_u64_e64 v[8:9], v[10:11], s[14:15]
	v_cmp_gt_i32_e32 vcc_lo, 32, v14
	v_add_nc_u64_e32 v[10:11], v[16:17], v[6:7]
	v_lshrrev_b32_e64 v16, v20, -1
	s_load_b64 s[12:13], s[0:1], 0x38
	v_add_nc_u32_e32 v17, s10, v6
	v_cndmask_b32_e32 v14, v13, v14, vcc_lo
	v_cmp_gt_i32_e32 vcc_lo, 32, v15
	v_xor_b32_e32 v22, 1, v13
	v_dual_mov_b32 v26, 1 :: v_dual_bitop2_b32 v20, 4, v13 bitop3:0x14
	s_wait_xcnt 0x0
	s_mov_b32 s1, 0
	v_dual_cndmask_b32 v15, v13, v15, vcc_lo :: v_dual_add_nc_u32 v25, v19, v6
	s_delay_alu instid0(VALU_DEP_2) | instskip(SKIP_1) | instid1(VALU_DEP_1)
	v_cmp_gt_i32_e32 vcc_lo, 32, v20
	v_dual_cndmask_b32 v23, v13, v20, vcc_lo :: v_dual_bitop2_b32 v21, 2, v13 bitop3:0x14
	v_cmp_gt_i32_e32 vcc_lo, 32, v21
	v_dual_lshlrev_b32 v20, 2, v14 :: v_dual_cndmask_b32 v24, v13, v21, vcc_lo
	v_lshlrev_b32_e32 v21, 2, v15
	v_cmp_gt_i32_e32 vcc_lo, 32, v22
	v_dual_cndmask_b32 v13, v13, v22 :: v_dual_lshlrev_b32 v22, 2, v23
	s_delay_alu instid0(VALU_DEP_1)
	v_dual_lshlrev_b32 v23, 2, v24 :: v_dual_lshlrev_b32 v24, 2, v13
	s_branch .LBB2_9
.LBB2_8:                                ;   in Loop: Header=BB2_9 Depth=1
	s_wait_xcnt 0x0
	s_or_b32 exec_lo, exec_lo, s10
	ds_bpermute_b32 v6, v20, v13
	s_bcnt1_i32_b32 s14, vcc_lo
	s_delay_alu instid0(SALU_CYCLE_1)
	v_add_nc_u64_e32 v[8:9], s[14:15], v[8:9]
	s_wait_dscnt 0x0
	v_min_i32_e32 v6, v6, v13
	ds_bpermute_b32 v12, v21, v6
	s_wait_dscnt 0x0
	v_min_i32_e32 v6, v12, v6
	ds_bpermute_b32 v12, v22, v6
	;; [unrolled: 3-line block ×4, first 2 shown]
	s_wait_dscnt 0x0
	v_min_i32_e32 v12, v12, v6
	s_delay_alu instid0(VALU_DEP_1) | instskip(NEXT) | instid1(VALU_DEP_1)
	v_ashrrev_i32_e32 v13, 31, v12
	v_cmp_le_i64_e64 s0, s[6:7], v[12:13]
	s_or_b32 s1, s0, s1
	s_delay_alu instid0(SALU_CYCLE_1)
	s_and_not1_b32 exec_lo, exec_lo, s1
	s_cbranch_execz .LBB2_31
.LBB2_9:                                ; =>This Loop Header: Depth=1
                                        ;     Child Loop BB2_12 Depth 2
                                        ;     Child Loop BB2_22 Depth 2
	v_mov_b32_e32 v13, v18
	s_mov_b32 s10, exec_lo
	ds_store_b8 v25, v7
	s_wait_dscnt 0x0
	v_cmpx_lt_i64_e64 v[0:1], v[2:3]
	s_cbranch_execz .LBB2_19
; %bb.10:                               ;   in Loop: Header=BB2_9 Depth=1
	s_wait_kmcnt 0x0
	v_lshl_add_u64 v[14:15], v[0:1], 2, s[2:3]
	v_mov_b32_e32 v13, v18
	s_mov_b32 s11, 0
	s_branch .LBB2_12
.LBB2_11:                               ;   in Loop: Header=BB2_12 Depth=2
	s_or_b32 exec_lo, exec_lo, s14
	s_delay_alu instid0(SALU_CYCLE_1) | instskip(NEXT) | instid1(SALU_CYCLE_1)
	s_and_b32 s0, exec_lo, s0
	s_or_b32 s11, s0, s11
	s_delay_alu instid0(SALU_CYCLE_1)
	s_and_not1_b32 exec_lo, exec_lo, s11
	s_cbranch_execz .LBB2_18
.LBB2_12:                               ;   Parent Loop BB2_9 Depth=1
                                        ; =>  This Inner Loop Header: Depth=2
	global_load_b32 v6, v[14:15], off
	s_wait_loadcnt 0x0
	v_subrev_nc_u32_e32 v27, s8, v6
	s_delay_alu instid0(VALU_DEP_1) | instskip(NEXT) | instid1(VALU_DEP_1)
	v_sub_nc_u32_e32 v6, v27, v12
	v_cmp_lt_u32_e64 s0, 31, v6
	v_cmp_gt_u32_e32 vcc_lo, 32, v6
	s_wait_xcnt 0x0
	s_and_saveexec_b32 s14, s0
	s_delay_alu instid0(SALU_CYCLE_1)
	s_xor_b32 s0, exec_lo, s14
	s_cbranch_execnz .LBB2_15
; %bb.13:                               ;   in Loop: Header=BB2_12 Depth=2
	s_and_not1_saveexec_b32 s0, s0
	s_cbranch_execnz .LBB2_16
.LBB2_14:                               ;   in Loop: Header=BB2_12 Depth=2
	s_or_b32 exec_lo, exec_lo, s0
	s_mov_b32 s0, -1
	s_and_saveexec_b32 s14, vcc_lo
	s_cbranch_execz .LBB2_11
	s_branch .LBB2_17
.LBB2_15:                               ;   in Loop: Header=BB2_12 Depth=2
	v_min_i32_e32 v13, v27, v13
                                        ; implicit-def: $vgpr6
	s_and_not1_saveexec_b32 s0, s0
	s_cbranch_execz .LBB2_14
.LBB2_16:                               ;   in Loop: Header=BB2_12 Depth=2
	v_add_nc_u32_e32 v6, v19, v6
	ds_store_b8 v6, v26
	s_or_b32 exec_lo, exec_lo, s0
	s_mov_b32 s0, -1
	s_and_saveexec_b32 s14, vcc_lo
	s_cbranch_execz .LBB2_11
.LBB2_17:                               ;   in Loop: Header=BB2_12 Depth=2
	v_add_nc_u64_e32 v[0:1], 32, v[0:1]
	v_add_nc_u64_e32 v[14:15], 0x80, v[14:15]
	s_delay_alu instid0(VALU_DEP_2)
	v_cmp_ge_i64_e32 vcc_lo, v[0:1], v[2:3]
	s_or_not1_b32 s0, vcc_lo, exec_lo
	s_branch .LBB2_11
.LBB2_18:                               ;   in Loop: Header=BB2_9 Depth=1
	s_or_b32 exec_lo, exec_lo, s11
.LBB2_19:                               ;   in Loop: Header=BB2_9 Depth=1
	s_delay_alu instid0(SALU_CYCLE_1) | instskip(NEXT) | instid1(SALU_CYCLE_1)
	s_or_b32 exec_lo, exec_lo, s10
	s_mov_b32 s10, exec_lo
	s_wait_dscnt 0x0
	v_cmpx_lt_i64_e64 v[10:11], v[4:5]
	s_cbranch_execz .LBB2_29
; %bb.20:                               ;   in Loop: Header=BB2_9 Depth=1
	s_wait_kmcnt 0x0
	v_lshl_add_u64 v[14:15], v[10:11], 2, s[4:5]
	s_mov_b32 s11, 0
	s_branch .LBB2_22
.LBB2_21:                               ;   in Loop: Header=BB2_22 Depth=2
	s_or_b32 exec_lo, exec_lo, s14
	s_delay_alu instid0(SALU_CYCLE_1) | instskip(NEXT) | instid1(SALU_CYCLE_1)
	s_and_b32 s0, exec_lo, s0
	s_or_b32 s11, s0, s11
	s_delay_alu instid0(SALU_CYCLE_1)
	s_and_not1_b32 exec_lo, exec_lo, s11
	s_cbranch_execz .LBB2_28
.LBB2_22:                               ;   Parent Loop BB2_9 Depth=1
                                        ; =>  This Inner Loop Header: Depth=2
	global_load_b32 v6, v[14:15], off
	s_wait_loadcnt 0x0
	v_subrev_nc_u32_e32 v27, s9, v6
	s_delay_alu instid0(VALU_DEP_1) | instskip(NEXT) | instid1(VALU_DEP_1)
	v_sub_nc_u32_e32 v6, v27, v12
	v_cmp_lt_u32_e64 s0, 31, v6
	v_cmp_gt_u32_e32 vcc_lo, 32, v6
	s_wait_xcnt 0x0
	s_and_saveexec_b32 s14, s0
	s_delay_alu instid0(SALU_CYCLE_1)
	s_xor_b32 s0, exec_lo, s14
	s_cbranch_execnz .LBB2_25
; %bb.23:                               ;   in Loop: Header=BB2_22 Depth=2
	s_and_not1_saveexec_b32 s0, s0
	s_cbranch_execnz .LBB2_26
.LBB2_24:                               ;   in Loop: Header=BB2_22 Depth=2
	s_or_b32 exec_lo, exec_lo, s0
	s_mov_b32 s0, -1
	s_and_saveexec_b32 s14, vcc_lo
	s_cbranch_execz .LBB2_21
	s_branch .LBB2_27
.LBB2_25:                               ;   in Loop: Header=BB2_22 Depth=2
	v_min_i32_e32 v13, v27, v13
                                        ; implicit-def: $vgpr6
	s_and_not1_saveexec_b32 s0, s0
	s_cbranch_execz .LBB2_24
.LBB2_26:                               ;   in Loop: Header=BB2_22 Depth=2
	v_add_nc_u32_e32 v6, v19, v6
	ds_store_b8 v6, v26
	s_or_b32 exec_lo, exec_lo, s0
	s_mov_b32 s0, -1
	s_and_saveexec_b32 s14, vcc_lo
	s_cbranch_execz .LBB2_21
.LBB2_27:                               ;   in Loop: Header=BB2_22 Depth=2
	v_add_nc_u64_e32 v[10:11], 32, v[10:11]
	v_add_nc_u64_e32 v[14:15], 0x80, v[14:15]
	s_delay_alu instid0(VALU_DEP_2)
	v_cmp_ge_i64_e32 vcc_lo, v[10:11], v[4:5]
	s_or_not1_b32 s0, vcc_lo, exec_lo
	s_branch .LBB2_21
.LBB2_28:                               ;   in Loop: Header=BB2_9 Depth=1
	s_or_b32 exec_lo, exec_lo, s11
.LBB2_29:                               ;   in Loop: Header=BB2_9 Depth=1
	s_delay_alu instid0(SALU_CYCLE_1)
	s_or_b32 exec_lo, exec_lo, s10
	s_wait_dscnt 0x0
	ds_load_u8 v6, v25
	s_mov_b32 s10, exec_lo
	s_wait_dscnt 0x0
	v_and_b32_e32 v14, 1, v6
	v_cmp_ne_u16_e32 vcc_lo, 0, v6
	s_delay_alu instid0(VALU_DEP_2)
	v_cmpx_eq_u32_e32 1, v14
	s_cbranch_execz .LBB2_8
; %bb.30:                               ;   in Loop: Header=BB2_9 Depth=1
	v_and_b32_e32 v6, vcc_lo, v16
	s_wait_kmcnt 0x0
	v_lshl_add_u64 v[14:15], v[8:9], 2, s[12:13]
	s_delay_alu instid0(VALU_DEP_2) | instskip(NEXT) | instid1(VALU_DEP_1)
	v_bcnt_u32_b32 v6, v6, 0
	v_lshlrev_b32_e32 v6, 2, v6
	s_delay_alu instid0(VALU_DEP_1)
	v_add_nc_u64_e32 v[14:15], v[14:15], v[6:7]
	v_add_nc_u32_e32 v6, v17, v12
	global_store_b32 v[14:15], v6, off offset:-4
	s_branch .LBB2_8
.LBB2_31:
	s_endpgm
	.section	.rodata,"a",@progbits
	.p2align	6, 0x0
	.amdhsa_kernel _ZN9rocsparseL38csrgeam_fill_symbolic_multipass_kernelILj256ELj32EliEEvllPKT1_PKT2_S3_S6_S3_PS4_21rocsparse_index_base_S8_S8_
		.amdhsa_group_segment_fixed_size 256
		.amdhsa_private_segment_fixed_size 0
		.amdhsa_kernarg_size 76
		.amdhsa_user_sgpr_count 2
		.amdhsa_user_sgpr_dispatch_ptr 0
		.amdhsa_user_sgpr_queue_ptr 0
		.amdhsa_user_sgpr_kernarg_segment_ptr 1
		.amdhsa_user_sgpr_dispatch_id 0
		.amdhsa_user_sgpr_kernarg_preload_length 0
		.amdhsa_user_sgpr_kernarg_preload_offset 0
		.amdhsa_user_sgpr_private_segment_size 0
		.amdhsa_wavefront_size32 1
		.amdhsa_uses_dynamic_stack 0
		.amdhsa_enable_private_segment 0
		.amdhsa_system_sgpr_workgroup_id_x 1
		.amdhsa_system_sgpr_workgroup_id_y 0
		.amdhsa_system_sgpr_workgroup_id_z 0
		.amdhsa_system_sgpr_workgroup_info 0
		.amdhsa_system_vgpr_workitem_id 0
		.amdhsa_next_free_vgpr 28
		.amdhsa_next_free_sgpr 18
		.amdhsa_named_barrier_count 0
		.amdhsa_reserve_vcc 1
		.amdhsa_float_round_mode_32 0
		.amdhsa_float_round_mode_16_64 0
		.amdhsa_float_denorm_mode_32 3
		.amdhsa_float_denorm_mode_16_64 3
		.amdhsa_fp16_overflow 0
		.amdhsa_memory_ordered 1
		.amdhsa_forward_progress 1
		.amdhsa_inst_pref_size 11
		.amdhsa_round_robin_scheduling 0
		.amdhsa_exception_fp_ieee_invalid_op 0
		.amdhsa_exception_fp_denorm_src 0
		.amdhsa_exception_fp_ieee_div_zero 0
		.amdhsa_exception_fp_ieee_overflow 0
		.amdhsa_exception_fp_ieee_underflow 0
		.amdhsa_exception_fp_ieee_inexact 0
		.amdhsa_exception_int_div_zero 0
	.end_amdhsa_kernel
	.section	.text._ZN9rocsparseL38csrgeam_fill_symbolic_multipass_kernelILj256ELj32EliEEvllPKT1_PKT2_S3_S6_S3_PS4_21rocsparse_index_base_S8_S8_,"axG",@progbits,_ZN9rocsparseL38csrgeam_fill_symbolic_multipass_kernelILj256ELj32EliEEvllPKT1_PKT2_S3_S6_S3_PS4_21rocsparse_index_base_S8_S8_,comdat
.Lfunc_end2:
	.size	_ZN9rocsparseL38csrgeam_fill_symbolic_multipass_kernelILj256ELj32EliEEvllPKT1_PKT2_S3_S6_S3_PS4_21rocsparse_index_base_S8_S8_, .Lfunc_end2-_ZN9rocsparseL38csrgeam_fill_symbolic_multipass_kernelILj256ELj32EliEEvllPKT1_PKT2_S3_S6_S3_PS4_21rocsparse_index_base_S8_S8_
                                        ; -- End function
	.set _ZN9rocsparseL38csrgeam_fill_symbolic_multipass_kernelILj256ELj32EliEEvllPKT1_PKT2_S3_S6_S3_PS4_21rocsparse_index_base_S8_S8_.num_vgpr, 28
	.set _ZN9rocsparseL38csrgeam_fill_symbolic_multipass_kernelILj256ELj32EliEEvllPKT1_PKT2_S3_S6_S3_PS4_21rocsparse_index_base_S8_S8_.num_agpr, 0
	.set _ZN9rocsparseL38csrgeam_fill_symbolic_multipass_kernelILj256ELj32EliEEvllPKT1_PKT2_S3_S6_S3_PS4_21rocsparse_index_base_S8_S8_.numbered_sgpr, 18
	.set _ZN9rocsparseL38csrgeam_fill_symbolic_multipass_kernelILj256ELj32EliEEvllPKT1_PKT2_S3_S6_S3_PS4_21rocsparse_index_base_S8_S8_.num_named_barrier, 0
	.set _ZN9rocsparseL38csrgeam_fill_symbolic_multipass_kernelILj256ELj32EliEEvllPKT1_PKT2_S3_S6_S3_PS4_21rocsparse_index_base_S8_S8_.private_seg_size, 0
	.set _ZN9rocsparseL38csrgeam_fill_symbolic_multipass_kernelILj256ELj32EliEEvllPKT1_PKT2_S3_S6_S3_PS4_21rocsparse_index_base_S8_S8_.uses_vcc, 1
	.set _ZN9rocsparseL38csrgeam_fill_symbolic_multipass_kernelILj256ELj32EliEEvllPKT1_PKT2_S3_S6_S3_PS4_21rocsparse_index_base_S8_S8_.uses_flat_scratch, 0
	.set _ZN9rocsparseL38csrgeam_fill_symbolic_multipass_kernelILj256ELj32EliEEvllPKT1_PKT2_S3_S6_S3_PS4_21rocsparse_index_base_S8_S8_.has_dyn_sized_stack, 0
	.set _ZN9rocsparseL38csrgeam_fill_symbolic_multipass_kernelILj256ELj32EliEEvllPKT1_PKT2_S3_S6_S3_PS4_21rocsparse_index_base_S8_S8_.has_recursion, 0
	.set _ZN9rocsparseL38csrgeam_fill_symbolic_multipass_kernelILj256ELj32EliEEvllPKT1_PKT2_S3_S6_S3_PS4_21rocsparse_index_base_S8_S8_.has_indirect_call, 0
	.section	.AMDGPU.csdata,"",@progbits
; Kernel info:
; codeLenInByte = 1360
; TotalNumSgprs: 20
; NumVgprs: 28
; ScratchSize: 0
; MemoryBound: 0
; FloatMode: 240
; IeeeMode: 1
; LDSByteSize: 256 bytes/workgroup (compile time only)
; SGPRBlocks: 0
; VGPRBlocks: 1
; NumSGPRsForWavesPerEU: 20
; NumVGPRsForWavesPerEU: 28
; NamedBarCnt: 0
; Occupancy: 16
; WaveLimiterHint : 1
; COMPUTE_PGM_RSRC2:SCRATCH_EN: 0
; COMPUTE_PGM_RSRC2:USER_SGPR: 2
; COMPUTE_PGM_RSRC2:TRAP_HANDLER: 0
; COMPUTE_PGM_RSRC2:TGID_X_EN: 1
; COMPUTE_PGM_RSRC2:TGID_Y_EN: 0
; COMPUTE_PGM_RSRC2:TGID_Z_EN: 0
; COMPUTE_PGM_RSRC2:TIDIG_COMP_CNT: 0
	.section	.text._ZN9rocsparseL38csrgeam_fill_symbolic_multipass_kernelILj256ELj64EliEEvllPKT1_PKT2_S3_S6_S3_PS4_21rocsparse_index_base_S8_S8_,"axG",@progbits,_ZN9rocsparseL38csrgeam_fill_symbolic_multipass_kernelILj256ELj64EliEEvllPKT1_PKT2_S3_S6_S3_PS4_21rocsparse_index_base_S8_S8_,comdat
	.globl	_ZN9rocsparseL38csrgeam_fill_symbolic_multipass_kernelILj256ELj64EliEEvllPKT1_PKT2_S3_S6_S3_PS4_21rocsparse_index_base_S8_S8_ ; -- Begin function _ZN9rocsparseL38csrgeam_fill_symbolic_multipass_kernelILj256ELj64EliEEvllPKT1_PKT2_S3_S6_S3_PS4_21rocsparse_index_base_S8_S8_
	.p2align	8
	.type	_ZN9rocsparseL38csrgeam_fill_symbolic_multipass_kernelILj256ELj64EliEEvllPKT1_PKT2_S3_S6_S3_PS4_21rocsparse_index_base_S8_S8_,@function
_ZN9rocsparseL38csrgeam_fill_symbolic_multipass_kernelILj256ELj64EliEEvllPKT1_PKT2_S3_S6_S3_PS4_21rocsparse_index_base_S8_S8_: ; @_ZN9rocsparseL38csrgeam_fill_symbolic_multipass_kernelILj256ELj64EliEEvllPKT1_PKT2_S3_S6_S3_PS4_21rocsparse_index_base_S8_S8_
; %bb.0:
	s_load_b128 s[4:7], s[0:1], 0x0
	s_bfe_u32 s2, ttmp6, 0x4000c
	s_and_b32 s3, ttmp6, 15
	s_add_co_i32 s2, s2, 1
	s_getreg_b32 s8, hwreg(HW_REG_IB_STS2, 6, 4)
	s_mul_i32 s2, ttmp9, s2
	v_dual_lshrrev_b32 v1, 6, v0 :: v_dual_mov_b32 v13, 0
	s_add_co_i32 s3, s3, s2
	s_cmp_eq_u32 s8, 0
	s_mov_b32 s15, 0
	s_cselect_b32 s2, ttmp9, s3
	s_delay_alu instid0(SALU_CYCLE_1) | instskip(NEXT) | instid1(SALU_CYCLE_1)
	s_lshl_b32 s2, s2, 2
	v_and_or_b32 v12, 0x3fffffc, s2, v1
	s_mov_b32 s2, exec_lo
	s_wait_kmcnt 0x0
	s_delay_alu instid0(VALU_DEP_1)
	v_cmpx_gt_i64_e64 s[4:5], v[12:13]
	s_cbranch_execz .LBB3_31
; %bb.1:
	s_clause 0x2
	s_load_b64 s[2:3], s[0:1], 0x10
	s_load_b64 s[4:5], s[0:1], 0x20
	;; [unrolled: 1-line block ×3, first 2 shown]
	v_lshlrev_b32_e32 v1, 3, v12
	s_wait_kmcnt 0x0
	s_clause 0x1
	global_load_b128 v[2:5], v1, s[2:3]
	global_load_b128 v[6:9], v1, s[4:5]
	global_load_b64 v[10:11], v12, s[8:9] scale_offset
	s_wait_xcnt 0x0
	s_load_b96 s[8:10], s[0:1], 0x40
	s_mov_b32 s2, exec_lo
	s_wait_kmcnt 0x0
	s_mov_b32 s14, s8
	s_wait_loadcnt 0x2
	v_cmpx_ge_i64_e64 v[2:3], v[4:5]
	s_xor_b32 s2, exec_lo, s2
	s_delay_alu instid0(SALU_CYCLE_1)
	s_or_saveexec_b32 s4, s2
	s_load_b64 s[2:3], s[0:1], 0x18
	v_sub_nc_u64_e64 v[12:13], v[2:3], s[14:15]
	v_mov_b32_e32 v1, s6
	s_xor_b32 exec_lo, exec_lo, s4
	s_cbranch_execz .LBB3_3
; %bb.2:
	s_wait_kmcnt 0x0
	s_delay_alu instid0(VALU_DEP_2)
	v_lshl_add_u64 v[2:3], v[12:13], 2, s[2:3]
	global_load_b32 v1, v[2:3], off
	s_wait_loadcnt 0x0
	v_subrev_nc_u32_e32 v1, s8, v1
.LBB3_3:
	s_or_b32 exec_lo, exec_lo, s4
	v_mov_b32_e32 v18, s6
	s_mov_b32 s17, 0
	s_mov_b32 s16, s9
	s_mov_b32 s4, exec_lo
	s_wait_loadcnt 0x1
	v_cmpx_ge_i64_e64 v[6:7], v[8:9]
	s_xor_b32 s4, exec_lo, s4
; %bb.4:
	v_mov_b32_e32 v18, s6
; %bb.5:
	s_or_saveexec_b32 s11, s4
	s_load_b64 s[4:5], s[0:1], 0x28
	v_sub_nc_u64_e64 v[16:17], v[6:7], s[16:17]
	s_delay_alu instid0(VALU_DEP_2)
	v_mov_b32_e32 v14, v18
	s_xor_b32 exec_lo, exec_lo, s11
	s_cbranch_execz .LBB3_7
; %bb.6:
	s_wait_kmcnt 0x0
	s_delay_alu instid0(VALU_DEP_2)
	v_lshl_add_u64 v[2:3], v[16:17], 2, s[4:5]
	global_load_b32 v2, v[2:3], off
	s_wait_loadcnt 0x0
	v_subrev_nc_u32_e32 v14, s9, v2
.LBB3_7:
	s_or_b32 exec_lo, exec_lo, s11
	v_dual_mov_b32 v7, 0 :: v_dual_bitop2_b32 v6, 63, v0 bitop3:0x40
	v_mbcnt_lo_u32_b32 v15, -1, 0
	v_sub_nc_u64_e64 v[2:3], v[4:5], s[14:15]
	s_mov_b32 s14, s10
	v_sub_nc_u64_e64 v[4:5], v[8:9], s[16:17]
	s_wait_loadcnt 0x0
	v_sub_nc_u64_e64 v[8:9], v[10:11], s[14:15]
	v_add_nc_u64_e32 v[10:11], v[12:13], v[6:7]
	v_bitop3_b32 v12, v0, 63, v0 bitop3:0xc
	v_or_b32_e32 v20, 32, v15
	v_and_b32_e32 v19, 0xc0, v0
	s_load_b64 s[12:13], s[0:1], 0x38
	v_mov_b32_e32 v27, 1
	v_lshrrev_b64 v[12:13], v12, -1
	v_add_nc_u32_e32 v13, s10, v6
	v_cmp_gt_i32_e32 vcc_lo, 32, v20
	v_min_i32_e32 v14, v14, v1
	v_add_nc_u64_e32 v[0:1], v[16:17], v[6:7]
	v_add_nc_u32_e32 v26, v19, v6
	s_wait_xcnt 0x0
	s_mov_b32 s1, 0
	v_dual_cndmask_b32 v20, v15, v20, vcc_lo :: v_dual_bitop2_b32 v16, 16, v15 bitop3:0x14
	s_delay_alu instid0(VALU_DEP_1) | instskip(NEXT) | instid1(VALU_DEP_2)
	v_lshlrev_b32_e32 v20, 2, v20
	v_cmp_gt_i32_e32 vcc_lo, 32, v16
	v_dual_cndmask_b32 v16, v15, v16, vcc_lo :: v_dual_bitop2_b32 v17, 8, v15 bitop3:0x14
	s_delay_alu instid0(VALU_DEP_1) | instskip(SKIP_1) | instid1(VALU_DEP_1)
	v_cmp_gt_i32_e32 vcc_lo, 32, v17
	v_dual_cndmask_b32 v17, v15, v17, vcc_lo :: v_dual_bitop2_b32 v21, 4, v15 bitop3:0x14
	v_cmp_gt_i32_e32 vcc_lo, 32, v21
	v_dual_cndmask_b32 v24, v15, v21, vcc_lo :: v_dual_bitop2_b32 v22, 2, v15 bitop3:0x14
	s_delay_alu instid0(VALU_DEP_1) | instskip(SKIP_2) | instid1(VALU_DEP_2)
	v_cmp_gt_i32_e32 vcc_lo, 32, v22
	v_dual_lshlrev_b32 v21, 2, v16 :: v_dual_bitop2_b32 v23, 1, v15 bitop3:0x14
	v_cndmask_b32_e32 v25, v15, v22, vcc_lo
	v_cmp_gt_i32_e32 vcc_lo, 32, v23
	v_dual_cndmask_b32 v15, v15, v23 :: v_dual_lshlrev_b32 v22, 2, v17
	s_delay_alu instid0(VALU_DEP_3) | instskip(NEXT) | instid1(VALU_DEP_2)
	v_dual_lshlrev_b32 v23, 2, v24 :: v_dual_lshlrev_b32 v24, 2, v25
	v_lshlrev_b32_e32 v25, 2, v15
	s_branch .LBB3_9
.LBB3_8:                                ;   in Loop: Header=BB3_9 Depth=1
	s_wait_xcnt 0x0
	s_or_b32 exec_lo, exec_lo, s10
	ds_bpermute_b32 v6, v20, v15
	s_bcnt1_i32_b32 s14, vcc_lo
	s_delay_alu instid0(SALU_CYCLE_1)
	v_add_nc_u64_e32 v[8:9], s[14:15], v[8:9]
	s_wait_dscnt 0x0
	v_min_i32_e32 v6, v6, v15
	ds_bpermute_b32 v14, v21, v6
	s_wait_dscnt 0x0
	v_min_i32_e32 v6, v14, v6
	ds_bpermute_b32 v14, v22, v6
	s_wait_dscnt 0x0
	v_min_i32_e32 v6, v14, v6
	ds_bpermute_b32 v14, v23, v6
	s_wait_dscnt 0x0
	v_min_i32_e32 v6, v14, v6
	ds_bpermute_b32 v14, v24, v6
	s_wait_dscnt 0x0
	v_min_i32_e32 v6, v14, v6
	ds_bpermute_b32 v14, v25, v6
	s_wait_dscnt 0x0
	v_min_i32_e32 v14, v14, v6
	s_delay_alu instid0(VALU_DEP_1) | instskip(NEXT) | instid1(VALU_DEP_1)
	v_ashrrev_i32_e32 v15, 31, v14
	v_cmp_le_i64_e64 s0, s[6:7], v[14:15]
	s_or_b32 s1, s0, s1
	s_delay_alu instid0(SALU_CYCLE_1)
	s_and_not1_b32 exec_lo, exec_lo, s1
	s_cbranch_execz .LBB3_31
.LBB3_9:                                ; =>This Loop Header: Depth=1
                                        ;     Child Loop BB3_12 Depth 2
                                        ;     Child Loop BB3_22 Depth 2
	v_mov_b32_e32 v15, v18
	s_mov_b32 s10, exec_lo
	ds_store_b8 v26, v7
	s_wait_dscnt 0x0
	v_cmpx_lt_i64_e64 v[10:11], v[2:3]
	s_cbranch_execz .LBB3_19
; %bb.10:                               ;   in Loop: Header=BB3_9 Depth=1
	s_wait_kmcnt 0x0
	v_lshl_add_u64 v[16:17], v[10:11], 2, s[2:3]
	v_mov_b32_e32 v15, v18
	s_mov_b32 s11, 0
	s_branch .LBB3_12
.LBB3_11:                               ;   in Loop: Header=BB3_12 Depth=2
	s_or_b32 exec_lo, exec_lo, s14
	s_delay_alu instid0(SALU_CYCLE_1) | instskip(NEXT) | instid1(SALU_CYCLE_1)
	s_and_b32 s0, exec_lo, s0
	s_or_b32 s11, s0, s11
	s_delay_alu instid0(SALU_CYCLE_1)
	s_and_not1_b32 exec_lo, exec_lo, s11
	s_cbranch_execz .LBB3_18
.LBB3_12:                               ;   Parent Loop BB3_9 Depth=1
                                        ; =>  This Inner Loop Header: Depth=2
	global_load_b32 v6, v[16:17], off
	s_wait_loadcnt 0x0
	v_subrev_nc_u32_e32 v28, s8, v6
	s_delay_alu instid0(VALU_DEP_1) | instskip(NEXT) | instid1(VALU_DEP_1)
	v_sub_nc_u32_e32 v6, v28, v14
	v_cmp_lt_u32_e64 s0, 63, v6
	v_cmp_gt_u32_e32 vcc_lo, 64, v6
	s_wait_xcnt 0x0
	s_and_saveexec_b32 s14, s0
	s_delay_alu instid0(SALU_CYCLE_1)
	s_xor_b32 s0, exec_lo, s14
	s_cbranch_execnz .LBB3_15
; %bb.13:                               ;   in Loop: Header=BB3_12 Depth=2
	s_and_not1_saveexec_b32 s0, s0
	s_cbranch_execnz .LBB3_16
.LBB3_14:                               ;   in Loop: Header=BB3_12 Depth=2
	s_or_b32 exec_lo, exec_lo, s0
	s_mov_b32 s0, -1
	s_and_saveexec_b32 s14, vcc_lo
	s_cbranch_execz .LBB3_11
	s_branch .LBB3_17
.LBB3_15:                               ;   in Loop: Header=BB3_12 Depth=2
	v_min_i32_e32 v15, v28, v15
                                        ; implicit-def: $vgpr6
	s_and_not1_saveexec_b32 s0, s0
	s_cbranch_execz .LBB3_14
.LBB3_16:                               ;   in Loop: Header=BB3_12 Depth=2
	v_add_nc_u32_e32 v6, v19, v6
	ds_store_b8 v6, v27
	s_or_b32 exec_lo, exec_lo, s0
	s_mov_b32 s0, -1
	s_and_saveexec_b32 s14, vcc_lo
	s_cbranch_execz .LBB3_11
.LBB3_17:                               ;   in Loop: Header=BB3_12 Depth=2
	v_add_nc_u64_e32 v[10:11], 64, v[10:11]
	v_add_nc_u64_e32 v[16:17], 0x100, v[16:17]
	s_delay_alu instid0(VALU_DEP_2)
	v_cmp_ge_i64_e32 vcc_lo, v[10:11], v[2:3]
	s_or_not1_b32 s0, vcc_lo, exec_lo
	s_branch .LBB3_11
.LBB3_18:                               ;   in Loop: Header=BB3_9 Depth=1
	s_or_b32 exec_lo, exec_lo, s11
.LBB3_19:                               ;   in Loop: Header=BB3_9 Depth=1
	s_delay_alu instid0(SALU_CYCLE_1) | instskip(NEXT) | instid1(SALU_CYCLE_1)
	s_or_b32 exec_lo, exec_lo, s10
	s_mov_b32 s10, exec_lo
	s_wait_dscnt 0x0
	v_cmpx_lt_i64_e64 v[0:1], v[4:5]
	s_cbranch_execz .LBB3_29
; %bb.20:                               ;   in Loop: Header=BB3_9 Depth=1
	s_wait_kmcnt 0x0
	v_lshl_add_u64 v[16:17], v[0:1], 2, s[4:5]
	s_mov_b32 s11, 0
	s_branch .LBB3_22
.LBB3_21:                               ;   in Loop: Header=BB3_22 Depth=2
	s_or_b32 exec_lo, exec_lo, s14
	s_delay_alu instid0(SALU_CYCLE_1) | instskip(NEXT) | instid1(SALU_CYCLE_1)
	s_and_b32 s0, exec_lo, s0
	s_or_b32 s11, s0, s11
	s_delay_alu instid0(SALU_CYCLE_1)
	s_and_not1_b32 exec_lo, exec_lo, s11
	s_cbranch_execz .LBB3_28
.LBB3_22:                               ;   Parent Loop BB3_9 Depth=1
                                        ; =>  This Inner Loop Header: Depth=2
	global_load_b32 v6, v[16:17], off
	s_wait_loadcnt 0x0
	v_subrev_nc_u32_e32 v28, s9, v6
	s_delay_alu instid0(VALU_DEP_1) | instskip(NEXT) | instid1(VALU_DEP_1)
	v_sub_nc_u32_e32 v6, v28, v14
	v_cmp_lt_u32_e64 s0, 63, v6
	v_cmp_gt_u32_e32 vcc_lo, 64, v6
	s_wait_xcnt 0x0
	s_and_saveexec_b32 s14, s0
	s_delay_alu instid0(SALU_CYCLE_1)
	s_xor_b32 s0, exec_lo, s14
	s_cbranch_execnz .LBB3_25
; %bb.23:                               ;   in Loop: Header=BB3_22 Depth=2
	s_and_not1_saveexec_b32 s0, s0
	s_cbranch_execnz .LBB3_26
.LBB3_24:                               ;   in Loop: Header=BB3_22 Depth=2
	s_or_b32 exec_lo, exec_lo, s0
	s_mov_b32 s0, -1
	s_and_saveexec_b32 s14, vcc_lo
	s_cbranch_execz .LBB3_21
	s_branch .LBB3_27
.LBB3_25:                               ;   in Loop: Header=BB3_22 Depth=2
	v_min_i32_e32 v15, v28, v15
                                        ; implicit-def: $vgpr6
	s_and_not1_saveexec_b32 s0, s0
	s_cbranch_execz .LBB3_24
.LBB3_26:                               ;   in Loop: Header=BB3_22 Depth=2
	v_add_nc_u32_e32 v6, v19, v6
	ds_store_b8 v6, v27
	s_or_b32 exec_lo, exec_lo, s0
	s_mov_b32 s0, -1
	s_and_saveexec_b32 s14, vcc_lo
	s_cbranch_execz .LBB3_21
.LBB3_27:                               ;   in Loop: Header=BB3_22 Depth=2
	v_add_nc_u64_e32 v[0:1], 64, v[0:1]
	v_add_nc_u64_e32 v[16:17], 0x100, v[16:17]
	s_delay_alu instid0(VALU_DEP_2)
	v_cmp_ge_i64_e32 vcc_lo, v[0:1], v[4:5]
	s_or_not1_b32 s0, vcc_lo, exec_lo
	s_branch .LBB3_21
.LBB3_28:                               ;   in Loop: Header=BB3_9 Depth=1
	s_or_b32 exec_lo, exec_lo, s11
.LBB3_29:                               ;   in Loop: Header=BB3_9 Depth=1
	s_delay_alu instid0(SALU_CYCLE_1)
	s_or_b32 exec_lo, exec_lo, s10
	s_wait_dscnt 0x0
	ds_load_u8 v6, v26
	s_mov_b32 s10, exec_lo
	s_wait_dscnt 0x0
	v_and_b32_e32 v16, 1, v6
	v_cmp_ne_u16_e32 vcc_lo, 0, v6
	s_delay_alu instid0(VALU_DEP_2)
	v_cmpx_eq_u32_e32 1, v16
	s_cbranch_execz .LBB3_8
; %bb.30:                               ;   in Loop: Header=BB3_9 Depth=1
	v_and_b32_e32 v6, vcc_lo, v12
	s_wait_kmcnt 0x0
	v_lshl_add_u64 v[16:17], v[8:9], 2, s[12:13]
	s_delay_alu instid0(VALU_DEP_2) | instskip(NEXT) | instid1(VALU_DEP_1)
	v_bcnt_u32_b32 v6, v6, 0
	v_lshlrev_b32_e32 v6, 2, v6
	s_delay_alu instid0(VALU_DEP_1)
	v_add_nc_u64_e32 v[16:17], v[16:17], v[6:7]
	v_add_nc_u32_e32 v6, v13, v14
	global_store_b32 v[16:17], v6, off offset:-4
	s_branch .LBB3_8
.LBB3_31:
	s_endpgm
	.section	.rodata,"a",@progbits
	.p2align	6, 0x0
	.amdhsa_kernel _ZN9rocsparseL38csrgeam_fill_symbolic_multipass_kernelILj256ELj64EliEEvllPKT1_PKT2_S3_S6_S3_PS4_21rocsparse_index_base_S8_S8_
		.amdhsa_group_segment_fixed_size 256
		.amdhsa_private_segment_fixed_size 0
		.amdhsa_kernarg_size 76
		.amdhsa_user_sgpr_count 2
		.amdhsa_user_sgpr_dispatch_ptr 0
		.amdhsa_user_sgpr_queue_ptr 0
		.amdhsa_user_sgpr_kernarg_segment_ptr 1
		.amdhsa_user_sgpr_dispatch_id 0
		.amdhsa_user_sgpr_kernarg_preload_length 0
		.amdhsa_user_sgpr_kernarg_preload_offset 0
		.amdhsa_user_sgpr_private_segment_size 0
		.amdhsa_wavefront_size32 1
		.amdhsa_uses_dynamic_stack 0
		.amdhsa_enable_private_segment 0
		.amdhsa_system_sgpr_workgroup_id_x 1
		.amdhsa_system_sgpr_workgroup_id_y 0
		.amdhsa_system_sgpr_workgroup_id_z 0
		.amdhsa_system_sgpr_workgroup_info 0
		.amdhsa_system_vgpr_workitem_id 0
		.amdhsa_next_free_vgpr 29
		.amdhsa_next_free_sgpr 18
		.amdhsa_named_barrier_count 0
		.amdhsa_reserve_vcc 1
		.amdhsa_float_round_mode_32 0
		.amdhsa_float_round_mode_16_64 0
		.amdhsa_float_denorm_mode_32 3
		.amdhsa_float_denorm_mode_16_64 3
		.amdhsa_fp16_overflow 0
		.amdhsa_memory_ordered 1
		.amdhsa_forward_progress 1
		.amdhsa_inst_pref_size 11
		.amdhsa_round_robin_scheduling 0
		.amdhsa_exception_fp_ieee_invalid_op 0
		.amdhsa_exception_fp_denorm_src 0
		.amdhsa_exception_fp_ieee_div_zero 0
		.amdhsa_exception_fp_ieee_overflow 0
		.amdhsa_exception_fp_ieee_underflow 0
		.amdhsa_exception_fp_ieee_inexact 0
		.amdhsa_exception_int_div_zero 0
	.end_amdhsa_kernel
	.section	.text._ZN9rocsparseL38csrgeam_fill_symbolic_multipass_kernelILj256ELj64EliEEvllPKT1_PKT2_S3_S6_S3_PS4_21rocsparse_index_base_S8_S8_,"axG",@progbits,_ZN9rocsparseL38csrgeam_fill_symbolic_multipass_kernelILj256ELj64EliEEvllPKT1_PKT2_S3_S6_S3_PS4_21rocsparse_index_base_S8_S8_,comdat
.Lfunc_end3:
	.size	_ZN9rocsparseL38csrgeam_fill_symbolic_multipass_kernelILj256ELj64EliEEvllPKT1_PKT2_S3_S6_S3_PS4_21rocsparse_index_base_S8_S8_, .Lfunc_end3-_ZN9rocsparseL38csrgeam_fill_symbolic_multipass_kernelILj256ELj64EliEEvllPKT1_PKT2_S3_S6_S3_PS4_21rocsparse_index_base_S8_S8_
                                        ; -- End function
	.set _ZN9rocsparseL38csrgeam_fill_symbolic_multipass_kernelILj256ELj64EliEEvllPKT1_PKT2_S3_S6_S3_PS4_21rocsparse_index_base_S8_S8_.num_vgpr, 29
	.set _ZN9rocsparseL38csrgeam_fill_symbolic_multipass_kernelILj256ELj64EliEEvllPKT1_PKT2_S3_S6_S3_PS4_21rocsparse_index_base_S8_S8_.num_agpr, 0
	.set _ZN9rocsparseL38csrgeam_fill_symbolic_multipass_kernelILj256ELj64EliEEvllPKT1_PKT2_S3_S6_S3_PS4_21rocsparse_index_base_S8_S8_.numbered_sgpr, 18
	.set _ZN9rocsparseL38csrgeam_fill_symbolic_multipass_kernelILj256ELj64EliEEvllPKT1_PKT2_S3_S6_S3_PS4_21rocsparse_index_base_S8_S8_.num_named_barrier, 0
	.set _ZN9rocsparseL38csrgeam_fill_symbolic_multipass_kernelILj256ELj64EliEEvllPKT1_PKT2_S3_S6_S3_PS4_21rocsparse_index_base_S8_S8_.private_seg_size, 0
	.set _ZN9rocsparseL38csrgeam_fill_symbolic_multipass_kernelILj256ELj64EliEEvllPKT1_PKT2_S3_S6_S3_PS4_21rocsparse_index_base_S8_S8_.uses_vcc, 1
	.set _ZN9rocsparseL38csrgeam_fill_symbolic_multipass_kernelILj256ELj64EliEEvllPKT1_PKT2_S3_S6_S3_PS4_21rocsparse_index_base_S8_S8_.uses_flat_scratch, 0
	.set _ZN9rocsparseL38csrgeam_fill_symbolic_multipass_kernelILj256ELj64EliEEvllPKT1_PKT2_S3_S6_S3_PS4_21rocsparse_index_base_S8_S8_.has_dyn_sized_stack, 0
	.set _ZN9rocsparseL38csrgeam_fill_symbolic_multipass_kernelILj256ELj64EliEEvllPKT1_PKT2_S3_S6_S3_PS4_21rocsparse_index_base_S8_S8_.has_recursion, 0
	.set _ZN9rocsparseL38csrgeam_fill_symbolic_multipass_kernelILj256ELj64EliEEvllPKT1_PKT2_S3_S6_S3_PS4_21rocsparse_index_base_S8_S8_.has_indirect_call, 0
	.section	.AMDGPU.csdata,"",@progbits
; Kernel info:
; codeLenInByte = 1404
; TotalNumSgprs: 20
; NumVgprs: 29
; ScratchSize: 0
; MemoryBound: 0
; FloatMode: 240
; IeeeMode: 1
; LDSByteSize: 256 bytes/workgroup (compile time only)
; SGPRBlocks: 0
; VGPRBlocks: 1
; NumSGPRsForWavesPerEU: 20
; NumVGPRsForWavesPerEU: 29
; NamedBarCnt: 0
; Occupancy: 16
; WaveLimiterHint : 1
; COMPUTE_PGM_RSRC2:SCRATCH_EN: 0
; COMPUTE_PGM_RSRC2:USER_SGPR: 2
; COMPUTE_PGM_RSRC2:TRAP_HANDLER: 0
; COMPUTE_PGM_RSRC2:TGID_X_EN: 1
; COMPUTE_PGM_RSRC2:TGID_Y_EN: 0
; COMPUTE_PGM_RSRC2:TGID_Z_EN: 0
; COMPUTE_PGM_RSRC2:TIDIG_COMP_CNT: 0
	.section	.text._ZN9rocsparseL38csrgeam_fill_symbolic_multipass_kernelILj256ELj32EllEEvllPKT1_PKT2_S3_S6_S3_PS4_21rocsparse_index_base_S8_S8_,"axG",@progbits,_ZN9rocsparseL38csrgeam_fill_symbolic_multipass_kernelILj256ELj32EllEEvllPKT1_PKT2_S3_S6_S3_PS4_21rocsparse_index_base_S8_S8_,comdat
	.globl	_ZN9rocsparseL38csrgeam_fill_symbolic_multipass_kernelILj256ELj32EllEEvllPKT1_PKT2_S3_S6_S3_PS4_21rocsparse_index_base_S8_S8_ ; -- Begin function _ZN9rocsparseL38csrgeam_fill_symbolic_multipass_kernelILj256ELj32EllEEvllPKT1_PKT2_S3_S6_S3_PS4_21rocsparse_index_base_S8_S8_
	.p2align	8
	.type	_ZN9rocsparseL38csrgeam_fill_symbolic_multipass_kernelILj256ELj32EllEEvllPKT1_PKT2_S3_S6_S3_PS4_21rocsparse_index_base_S8_S8_,@function
_ZN9rocsparseL38csrgeam_fill_symbolic_multipass_kernelILj256ELj32EllEEvllPKT1_PKT2_S3_S6_S3_PS4_21rocsparse_index_base_S8_S8_: ; @_ZN9rocsparseL38csrgeam_fill_symbolic_multipass_kernelILj256ELj32EllEEvllPKT1_PKT2_S3_S6_S3_PS4_21rocsparse_index_base_S8_S8_
; %bb.0:
	s_load_b128 s[4:7], s[0:1], 0x0
	s_bfe_u32 s2, ttmp6, 0x4000c
	s_and_b32 s3, ttmp6, 15
	s_add_co_i32 s2, s2, 1
	s_getreg_b32 s8, hwreg(HW_REG_IB_STS2, 6, 4)
	s_mul_i32 s2, ttmp9, s2
	v_dual_lshrrev_b32 v1, 5, v0 :: v_dual_mov_b32 v13, 0
	s_add_co_i32 s3, s3, s2
	s_cmp_eq_u32 s8, 0
	s_cselect_b32 s2, ttmp9, s3
	s_mov_b32 s3, 0
	s_lshl_b32 s2, s2, 3
	s_delay_alu instid0(SALU_CYCLE_1) | instskip(SKIP_2) | instid1(VALU_DEP_1)
	v_and_or_b32 v12, 0x7fffff8, s2, v1
	s_mov_b32 s2, exec_lo
	s_wait_kmcnt 0x0
	v_cmpx_gt_i64_e64 s[4:5], v[12:13]
	s_cbranch_execz .LBB4_29
; %bb.1:
	s_clause 0x2
	s_load_b128 s[8:11], s[0:1], 0x10
	s_load_b64 s[4:5], s[0:1], 0x20
	s_load_b64 s[16:17], s[0:1], 0x30
	v_lshlrev_b32_e32 v1, 3, v12
	s_load_b96 s[12:14], s[0:1], 0x40
	v_mov_b64_e32 v[14:15], s[6:7]
	s_wait_kmcnt 0x0
	s_clause 0x1
	global_load_b128 v[2:5], v1, s[8:9]
	global_load_b128 v[6:9], v1, s[4:5]
	global_load_b64 v[10:11], v12, s[16:17] scale_offset
	s_wait_xcnt 0x1
	s_mov_b32 s4, exec_lo
	s_mov_b32 s2, s12
	s_wait_loadcnt 0x2
	s_wait_xcnt 0x0
	v_sub_nc_u64_e64 v[12:13], v[2:3], s[2:3]
	v_cmpx_lt_i64_e64 v[2:3], v[4:5]
	s_cbranch_execz .LBB4_3
; %bb.2:
	s_delay_alu instid0(VALU_DEP_2)
	v_lshl_add_u64 v[2:3], v[12:13], 3, s[10:11]
	global_load_b64 v[2:3], v[2:3], off
	s_wait_loadcnt 0x0
	v_sub_nc_u64_e64 v[14:15], v[2:3], s[2:3]
.LBB4_3:
	s_or_b32 exec_lo, exec_lo, s4
	s_load_b64 s[4:5], s[0:1], 0x28
	s_mov_b32 s9, 0
	s_mov_b32 s12, s13
	;; [unrolled: 1-line block ×3, first 2 shown]
	v_mov_b64_e32 v[18:19], s[6:7]
	s_wait_loadcnt 0x1
	v_sub_nc_u64_e64 v[16:17], v[6:7], s[12:13]
	s_mov_b32 s8, exec_lo
	v_cmpx_lt_i64_e64 v[6:7], v[8:9]
	s_cbranch_execz .LBB4_5
; %bb.4:
	s_wait_kmcnt 0x0
	s_delay_alu instid0(VALU_DEP_2)
	v_lshl_add_u64 v[2:3], v[16:17], 3, s[4:5]
	global_load_b64 v[2:3], v[2:3], off
	s_wait_loadcnt 0x0
	v_sub_nc_u64_e64 v[18:19], v[2:3], s[12:13]
.LBB4_5:
	s_or_b32 exec_lo, exec_lo, s8
	v_mbcnt_lo_u32_b32 v20, -1, 0
	s_delay_alu instid0(VALU_DEP_2) | instskip(SKIP_4) | instid1(VALU_DEP_3)
	v_min_i64 v[14:15], v[18:19], v[14:15]
	v_bitop3_b32 v18, v0, 31, v0 bitop3:0xc
	v_dual_mov_b32 v7, 0 :: v_dual_bitop2_b32 v6, 31, v0 bitop3:0x40
	s_mov_b32 s8, s14
	v_and_b32_e32 v24, 0xe0, v0
	v_lshrrev_b32_e64 v25, v18, -1
	v_xor_b32_e32 v18, 4, v20
	v_xor_b32_e32 v19, 16, v20
	s_wait_loadcnt 0x0
	v_sub_nc_u64_e64 v[0:1], v[10:11], s[8:9]
	v_add_nc_u64_e32 v[10:11], v[16:17], v[6:7]
	s_load_b64 s[16:17], s[0:1], 0x38
	v_sub_nc_u64_e64 v[2:3], v[4:5], s[2:3]
	v_cmp_gt_i32_e32 vcc_lo, 32, v19
	v_xor_b32_e32 v16, 8, v20
	v_sub_nc_u64_e64 v[4:5], v[8:9], s[12:13]
	v_add_nc_u64_e32 v[8:9], v[12:13], v[6:7]
	v_add_nc_u64_e32 v[12:13], s[8:9], v[6:7]
	v_cndmask_b32_e32 v17, v20, v19, vcc_lo
	v_cmp_gt_i32_e32 vcc_lo, 32, v16
	v_mov_b32_e32 v32, 1
	s_wait_xcnt 0x0
	s_mov_b32 s1, 0
	v_dual_add_nc_u32 v31, v24, v6 :: v_dual_lshlrev_b32 v26, 2, v17
	v_cndmask_b32_e32 v16, v20, v16, vcc_lo
	v_cmp_gt_i32_e32 vcc_lo, 32, v18
	v_dual_cndmask_b32 v18, v20, v18, vcc_lo :: v_dual_bitop2_b32 v21, 1, v20 bitop3:0x14
	s_delay_alu instid0(VALU_DEP_1) | instskip(NEXT) | instid1(VALU_DEP_1)
	v_dual_lshlrev_b32 v28, 2, v18 :: v_dual_bitop2_b32 v19, 2, v20 bitop3:0x14
	v_cmp_gt_i32_e32 vcc_lo, 32, v19
	v_cndmask_b32_e32 v19, v20, v19, vcc_lo
	s_delay_alu instid0(VALU_DEP_4) | instskip(NEXT) | instid1(VALU_DEP_2)
	v_cmp_gt_i32_e32 vcc_lo, 32, v21
	v_dual_lshlrev_b32 v27, 2, v16 :: v_dual_lshlrev_b32 v29, 2, v19
	v_cndmask_b32_e32 v20, v20, v21, vcc_lo
	s_delay_alu instid0(VALU_DEP_1)
	v_lshlrev_b32_e32 v30, 2, v20
	s_branch .LBB4_7
.LBB4_6:                                ;   in Loop: Header=BB4_7 Depth=1
	s_wait_xcnt 0x0
	s_or_b32 exec_lo, exec_lo, s8
	ds_bpermute_b32 v14, v26, v16
	ds_bpermute_b32 v15, v26, v17
	s_bcnt1_i32_b32 s8, vcc_lo
	s_delay_alu instid0(SALU_CYCLE_1)
	v_add_nc_u64_e32 v[0:1], s[8:9], v[0:1]
	s_wait_dscnt 0x0
	v_min_i64 v[14:15], v[14:15], v[16:17]
	ds_bpermute_b32 v16, v27, v14
	ds_bpermute_b32 v17, v27, v15
	s_wait_dscnt 0x0
	v_min_i64 v[14:15], v[16:17], v[14:15]
	ds_bpermute_b32 v16, v28, v14
	ds_bpermute_b32 v17, v28, v15
	;; [unrolled: 4-line block ×4, first 2 shown]
	s_wait_dscnt 0x0
	v_min_i64 v[14:15], v[16:17], v[14:15]
	s_delay_alu instid0(VALU_DEP_1) | instskip(SKIP_1) | instid1(SALU_CYCLE_1)
	v_cmp_le_i64_e64 s0, s[6:7], v[14:15]
	s_or_b32 s1, s0, s1
	s_and_not1_b32 exec_lo, exec_lo, s1
	s_cbranch_execz .LBB4_29
.LBB4_7:                                ; =>This Loop Header: Depth=1
                                        ;     Child Loop BB4_10 Depth 2
                                        ;     Child Loop BB4_20 Depth 2
	v_mov_b64_e32 v[16:17], s[6:7]
	s_mov_b32 s8, exec_lo
	ds_store_b8 v31, v7
	s_wait_dscnt 0x0
	v_cmpx_lt_i64_e64 v[8:9], v[2:3]
	s_cbranch_execz .LBB4_17
; %bb.8:                                ;   in Loop: Header=BB4_7 Depth=1
	v_mov_b64_e32 v[16:17], s[6:7]
	v_lshl_add_u64 v[18:19], v[8:9], 3, s[10:11]
	s_mov_b32 s14, 0
	s_branch .LBB4_10
.LBB4_9:                                ;   in Loop: Header=BB4_10 Depth=2
	s_or_b32 exec_lo, exec_lo, s15
	s_delay_alu instid0(SALU_CYCLE_1) | instskip(NEXT) | instid1(SALU_CYCLE_1)
	s_and_b32 s0, exec_lo, s0
	s_or_b32 s14, s0, s14
	s_delay_alu instid0(SALU_CYCLE_1)
	s_and_not1_b32 exec_lo, exec_lo, s14
	s_cbranch_execz .LBB4_16
.LBB4_10:                               ;   Parent Loop BB4_7 Depth=1
                                        ; =>  This Inner Loop Header: Depth=2
	global_load_b64 v[20:21], v[18:19], off
	s_wait_loadcnt 0x0
	v_sub_nc_u64_e64 v[22:23], v[20:21], s[2:3]
	s_delay_alu instid0(VALU_DEP_1) | instskip(NEXT) | instid1(VALU_DEP_1)
	v_sub_nc_u64_e32 v[20:21], v[22:23], v[14:15]
	v_cmp_lt_i64_e64 s0, 31, v[20:21]
	v_cmp_gt_i64_e32 vcc_lo, 32, v[20:21]
	s_wait_xcnt 0x0
	s_and_saveexec_b32 s15, s0
	s_delay_alu instid0(SALU_CYCLE_1)
	s_xor_b32 s0, exec_lo, s15
	s_cbranch_execnz .LBB4_13
; %bb.11:                               ;   in Loop: Header=BB4_10 Depth=2
	s_and_not1_saveexec_b32 s0, s0
	s_cbranch_execnz .LBB4_14
.LBB4_12:                               ;   in Loop: Header=BB4_10 Depth=2
	s_or_b32 exec_lo, exec_lo, s0
	s_mov_b32 s0, -1
	s_and_saveexec_b32 s15, vcc_lo
	s_cbranch_execz .LBB4_9
	s_branch .LBB4_15
.LBB4_13:                               ;   in Loop: Header=BB4_10 Depth=2
	v_min_i64 v[16:17], v[22:23], v[16:17]
                                        ; implicit-def: $vgpr20_vgpr21
	s_and_not1_saveexec_b32 s0, s0
	s_cbranch_execz .LBB4_12
.LBB4_14:                               ;   in Loop: Header=BB4_10 Depth=2
	v_add_nc_u32_e32 v6, v24, v20
	ds_store_b8 v6, v32
	s_or_b32 exec_lo, exec_lo, s0
	s_mov_b32 s0, -1
	s_and_saveexec_b32 s15, vcc_lo
	s_cbranch_execz .LBB4_9
.LBB4_15:                               ;   in Loop: Header=BB4_10 Depth=2
	v_add_nc_u64_e32 v[8:9], 32, v[8:9]
	v_add_nc_u64_e32 v[18:19], 0x100, v[18:19]
	s_delay_alu instid0(VALU_DEP_2)
	v_cmp_ge_i64_e32 vcc_lo, v[8:9], v[2:3]
	s_or_not1_b32 s0, vcc_lo, exec_lo
	s_branch .LBB4_9
.LBB4_16:                               ;   in Loop: Header=BB4_7 Depth=1
	s_or_b32 exec_lo, exec_lo, s14
.LBB4_17:                               ;   in Loop: Header=BB4_7 Depth=1
	s_delay_alu instid0(SALU_CYCLE_1) | instskip(NEXT) | instid1(SALU_CYCLE_1)
	s_or_b32 exec_lo, exec_lo, s8
	s_mov_b32 s8, exec_lo
	s_wait_dscnt 0x0
	v_cmpx_lt_i64_e64 v[10:11], v[4:5]
	s_cbranch_execz .LBB4_27
; %bb.18:                               ;   in Loop: Header=BB4_7 Depth=1
	s_wait_kmcnt 0x0
	v_lshl_add_u64 v[18:19], v[10:11], 3, s[4:5]
	s_mov_b32 s14, 0
	s_branch .LBB4_20
.LBB4_19:                               ;   in Loop: Header=BB4_20 Depth=2
	s_or_b32 exec_lo, exec_lo, s15
	s_delay_alu instid0(SALU_CYCLE_1) | instskip(NEXT) | instid1(SALU_CYCLE_1)
	s_and_b32 s0, exec_lo, s0
	s_or_b32 s14, s0, s14
	s_delay_alu instid0(SALU_CYCLE_1)
	s_and_not1_b32 exec_lo, exec_lo, s14
	s_cbranch_execz .LBB4_26
.LBB4_20:                               ;   Parent Loop BB4_7 Depth=1
                                        ; =>  This Inner Loop Header: Depth=2
	global_load_b64 v[20:21], v[18:19], off
	s_wait_loadcnt 0x0
	v_sub_nc_u64_e64 v[22:23], v[20:21], s[12:13]
	s_delay_alu instid0(VALU_DEP_1) | instskip(NEXT) | instid1(VALU_DEP_1)
	v_sub_nc_u64_e32 v[20:21], v[22:23], v[14:15]
	v_cmp_lt_i64_e64 s0, 31, v[20:21]
	v_cmp_gt_i64_e32 vcc_lo, 32, v[20:21]
	s_wait_xcnt 0x0
	s_and_saveexec_b32 s15, s0
	s_delay_alu instid0(SALU_CYCLE_1)
	s_xor_b32 s0, exec_lo, s15
	s_cbranch_execnz .LBB4_23
; %bb.21:                               ;   in Loop: Header=BB4_20 Depth=2
	s_and_not1_saveexec_b32 s0, s0
	s_cbranch_execnz .LBB4_24
.LBB4_22:                               ;   in Loop: Header=BB4_20 Depth=2
	s_or_b32 exec_lo, exec_lo, s0
	s_mov_b32 s0, -1
	s_and_saveexec_b32 s15, vcc_lo
	s_cbranch_execz .LBB4_19
	s_branch .LBB4_25
.LBB4_23:                               ;   in Loop: Header=BB4_20 Depth=2
	v_min_i64 v[16:17], v[22:23], v[16:17]
                                        ; implicit-def: $vgpr20_vgpr21
	s_and_not1_saveexec_b32 s0, s0
	s_cbranch_execz .LBB4_22
.LBB4_24:                               ;   in Loop: Header=BB4_20 Depth=2
	v_add_nc_u32_e32 v6, v24, v20
	ds_store_b8 v6, v32
	s_or_b32 exec_lo, exec_lo, s0
	s_mov_b32 s0, -1
	s_and_saveexec_b32 s15, vcc_lo
	s_cbranch_execz .LBB4_19
.LBB4_25:                               ;   in Loop: Header=BB4_20 Depth=2
	v_add_nc_u64_e32 v[10:11], 32, v[10:11]
	v_add_nc_u64_e32 v[18:19], 0x100, v[18:19]
	s_delay_alu instid0(VALU_DEP_2)
	v_cmp_ge_i64_e32 vcc_lo, v[10:11], v[4:5]
	s_or_not1_b32 s0, vcc_lo, exec_lo
	s_branch .LBB4_19
.LBB4_26:                               ;   in Loop: Header=BB4_7 Depth=1
	s_or_b32 exec_lo, exec_lo, s14
.LBB4_27:                               ;   in Loop: Header=BB4_7 Depth=1
	s_delay_alu instid0(SALU_CYCLE_1)
	s_or_b32 exec_lo, exec_lo, s8
	s_wait_dscnt 0x0
	ds_load_u8 v6, v31
	s_mov_b32 s8, exec_lo
	s_wait_dscnt 0x0
	v_and_b32_e32 v18, 1, v6
	v_cmp_ne_u16_e32 vcc_lo, 0, v6
	s_delay_alu instid0(VALU_DEP_2)
	v_cmpx_eq_u32_e32 1, v18
	s_cbranch_execz .LBB4_6
; %bb.28:                               ;   in Loop: Header=BB4_7 Depth=1
	v_and_b32_e32 v6, vcc_lo, v25
	s_wait_kmcnt 0x0
	v_lshl_add_u64 v[18:19], v[0:1], 3, s[16:17]
	v_add_nc_u64_e32 v[14:15], v[12:13], v[14:15]
	s_delay_alu instid0(VALU_DEP_3) | instskip(NEXT) | instid1(VALU_DEP_1)
	v_bcnt_u32_b32 v6, v6, 0
	v_lshlrev_b32_e32 v6, 3, v6
	s_delay_alu instid0(VALU_DEP_1)
	v_add_nc_u64_e32 v[18:19], v[18:19], v[6:7]
	global_store_b64 v[18:19], v[14:15], off offset:-8
	s_branch .LBB4_6
.LBB4_29:
	s_endpgm
	.section	.rodata,"a",@progbits
	.p2align	6, 0x0
	.amdhsa_kernel _ZN9rocsparseL38csrgeam_fill_symbolic_multipass_kernelILj256ELj32EllEEvllPKT1_PKT2_S3_S6_S3_PS4_21rocsparse_index_base_S8_S8_
		.amdhsa_group_segment_fixed_size 256
		.amdhsa_private_segment_fixed_size 0
		.amdhsa_kernarg_size 76
		.amdhsa_user_sgpr_count 2
		.amdhsa_user_sgpr_dispatch_ptr 0
		.amdhsa_user_sgpr_queue_ptr 0
		.amdhsa_user_sgpr_kernarg_segment_ptr 1
		.amdhsa_user_sgpr_dispatch_id 0
		.amdhsa_user_sgpr_kernarg_preload_length 0
		.amdhsa_user_sgpr_kernarg_preload_offset 0
		.amdhsa_user_sgpr_private_segment_size 0
		.amdhsa_wavefront_size32 1
		.amdhsa_uses_dynamic_stack 0
		.amdhsa_enable_private_segment 0
		.amdhsa_system_sgpr_workgroup_id_x 1
		.amdhsa_system_sgpr_workgroup_id_y 0
		.amdhsa_system_sgpr_workgroup_id_z 0
		.amdhsa_system_sgpr_workgroup_info 0
		.amdhsa_system_vgpr_workitem_id 0
		.amdhsa_next_free_vgpr 33
		.amdhsa_next_free_sgpr 18
		.amdhsa_named_barrier_count 0
		.amdhsa_reserve_vcc 1
		.amdhsa_float_round_mode_32 0
		.amdhsa_float_round_mode_16_64 0
		.amdhsa_float_denorm_mode_32 3
		.amdhsa_float_denorm_mode_16_64 3
		.amdhsa_fp16_overflow 0
		.amdhsa_memory_ordered 1
		.amdhsa_forward_progress 1
		.amdhsa_inst_pref_size 11
		.amdhsa_round_robin_scheduling 0
		.amdhsa_exception_fp_ieee_invalid_op 0
		.amdhsa_exception_fp_denorm_src 0
		.amdhsa_exception_fp_ieee_div_zero 0
		.amdhsa_exception_fp_ieee_overflow 0
		.amdhsa_exception_fp_ieee_underflow 0
		.amdhsa_exception_fp_ieee_inexact 0
		.amdhsa_exception_int_div_zero 0
	.end_amdhsa_kernel
	.section	.text._ZN9rocsparseL38csrgeam_fill_symbolic_multipass_kernelILj256ELj32EllEEvllPKT1_PKT2_S3_S6_S3_PS4_21rocsparse_index_base_S8_S8_,"axG",@progbits,_ZN9rocsparseL38csrgeam_fill_symbolic_multipass_kernelILj256ELj32EllEEvllPKT1_PKT2_S3_S6_S3_PS4_21rocsparse_index_base_S8_S8_,comdat
.Lfunc_end4:
	.size	_ZN9rocsparseL38csrgeam_fill_symbolic_multipass_kernelILj256ELj32EllEEvllPKT1_PKT2_S3_S6_S3_PS4_21rocsparse_index_base_S8_S8_, .Lfunc_end4-_ZN9rocsparseL38csrgeam_fill_symbolic_multipass_kernelILj256ELj32EllEEvllPKT1_PKT2_S3_S6_S3_PS4_21rocsparse_index_base_S8_S8_
                                        ; -- End function
	.set _ZN9rocsparseL38csrgeam_fill_symbolic_multipass_kernelILj256ELj32EllEEvllPKT1_PKT2_S3_S6_S3_PS4_21rocsparse_index_base_S8_S8_.num_vgpr, 33
	.set _ZN9rocsparseL38csrgeam_fill_symbolic_multipass_kernelILj256ELj32EllEEvllPKT1_PKT2_S3_S6_S3_PS4_21rocsparse_index_base_S8_S8_.num_agpr, 0
	.set _ZN9rocsparseL38csrgeam_fill_symbolic_multipass_kernelILj256ELj32EllEEvllPKT1_PKT2_S3_S6_S3_PS4_21rocsparse_index_base_S8_S8_.numbered_sgpr, 18
	.set _ZN9rocsparseL38csrgeam_fill_symbolic_multipass_kernelILj256ELj32EllEEvllPKT1_PKT2_S3_S6_S3_PS4_21rocsparse_index_base_S8_S8_.num_named_barrier, 0
	.set _ZN9rocsparseL38csrgeam_fill_symbolic_multipass_kernelILj256ELj32EllEEvllPKT1_PKT2_S3_S6_S3_PS4_21rocsparse_index_base_S8_S8_.private_seg_size, 0
	.set _ZN9rocsparseL38csrgeam_fill_symbolic_multipass_kernelILj256ELj32EllEEvllPKT1_PKT2_S3_S6_S3_PS4_21rocsparse_index_base_S8_S8_.uses_vcc, 1
	.set _ZN9rocsparseL38csrgeam_fill_symbolic_multipass_kernelILj256ELj32EllEEvllPKT1_PKT2_S3_S6_S3_PS4_21rocsparse_index_base_S8_S8_.uses_flat_scratch, 0
	.set _ZN9rocsparseL38csrgeam_fill_symbolic_multipass_kernelILj256ELj32EllEEvllPKT1_PKT2_S3_S6_S3_PS4_21rocsparse_index_base_S8_S8_.has_dyn_sized_stack, 0
	.set _ZN9rocsparseL38csrgeam_fill_symbolic_multipass_kernelILj256ELj32EllEEvllPKT1_PKT2_S3_S6_S3_PS4_21rocsparse_index_base_S8_S8_.has_recursion, 0
	.set _ZN9rocsparseL38csrgeam_fill_symbolic_multipass_kernelILj256ELj32EllEEvllPKT1_PKT2_S3_S6_S3_PS4_21rocsparse_index_base_S8_S8_.has_indirect_call, 0
	.section	.AMDGPU.csdata,"",@progbits
; Kernel info:
; codeLenInByte = 1388
; TotalNumSgprs: 20
; NumVgprs: 33
; ScratchSize: 0
; MemoryBound: 0
; FloatMode: 240
; IeeeMode: 1
; LDSByteSize: 256 bytes/workgroup (compile time only)
; SGPRBlocks: 0
; VGPRBlocks: 2
; NumSGPRsForWavesPerEU: 20
; NumVGPRsForWavesPerEU: 33
; NamedBarCnt: 0
; Occupancy: 16
; WaveLimiterHint : 1
; COMPUTE_PGM_RSRC2:SCRATCH_EN: 0
; COMPUTE_PGM_RSRC2:USER_SGPR: 2
; COMPUTE_PGM_RSRC2:TRAP_HANDLER: 0
; COMPUTE_PGM_RSRC2:TGID_X_EN: 1
; COMPUTE_PGM_RSRC2:TGID_Y_EN: 0
; COMPUTE_PGM_RSRC2:TGID_Z_EN: 0
; COMPUTE_PGM_RSRC2:TIDIG_COMP_CNT: 0
	.section	.text._ZN9rocsparseL38csrgeam_fill_symbolic_multipass_kernelILj256ELj64EllEEvllPKT1_PKT2_S3_S6_S3_PS4_21rocsparse_index_base_S8_S8_,"axG",@progbits,_ZN9rocsparseL38csrgeam_fill_symbolic_multipass_kernelILj256ELj64EllEEvllPKT1_PKT2_S3_S6_S3_PS4_21rocsparse_index_base_S8_S8_,comdat
	.globl	_ZN9rocsparseL38csrgeam_fill_symbolic_multipass_kernelILj256ELj64EllEEvllPKT1_PKT2_S3_S6_S3_PS4_21rocsparse_index_base_S8_S8_ ; -- Begin function _ZN9rocsparseL38csrgeam_fill_symbolic_multipass_kernelILj256ELj64EllEEvllPKT1_PKT2_S3_S6_S3_PS4_21rocsparse_index_base_S8_S8_
	.p2align	8
	.type	_ZN9rocsparseL38csrgeam_fill_symbolic_multipass_kernelILj256ELj64EllEEvllPKT1_PKT2_S3_S6_S3_PS4_21rocsparse_index_base_S8_S8_,@function
_ZN9rocsparseL38csrgeam_fill_symbolic_multipass_kernelILj256ELj64EllEEvllPKT1_PKT2_S3_S6_S3_PS4_21rocsparse_index_base_S8_S8_: ; @_ZN9rocsparseL38csrgeam_fill_symbolic_multipass_kernelILj256ELj64EllEEvllPKT1_PKT2_S3_S6_S3_PS4_21rocsparse_index_base_S8_S8_
; %bb.0:
	s_load_b128 s[4:7], s[0:1], 0x0
	s_bfe_u32 s2, ttmp6, 0x4000c
	s_and_b32 s3, ttmp6, 15
	s_add_co_i32 s2, s2, 1
	s_getreg_b32 s8, hwreg(HW_REG_IB_STS2, 6, 4)
	s_mul_i32 s2, ttmp9, s2
	v_dual_lshrrev_b32 v1, 6, v0 :: v_dual_mov_b32 v13, 0
	s_add_co_i32 s3, s3, s2
	s_cmp_eq_u32 s8, 0
	s_cselect_b32 s2, ttmp9, s3
	s_mov_b32 s3, 0
	s_lshl_b32 s2, s2, 2
	s_delay_alu instid0(SALU_CYCLE_1) | instskip(SKIP_2) | instid1(VALU_DEP_1)
	v_and_or_b32 v12, 0x3fffffc, s2, v1
	s_mov_b32 s2, exec_lo
	s_wait_kmcnt 0x0
	v_cmpx_gt_i64_e64 s[4:5], v[12:13]
	s_cbranch_execz .LBB5_29
; %bb.1:
	s_clause 0x2
	s_load_b128 s[8:11], s[0:1], 0x10
	s_load_b64 s[4:5], s[0:1], 0x20
	s_load_b64 s[16:17], s[0:1], 0x30
	v_lshlrev_b32_e32 v1, 3, v12
	s_load_b96 s[12:14], s[0:1], 0x40
	v_mov_b64_e32 v[14:15], s[6:7]
	s_wait_kmcnt 0x0
	s_clause 0x1
	global_load_b128 v[6:9], v1, s[8:9]
	global_load_b128 v[2:5], v1, s[4:5]
	global_load_b64 v[10:11], v12, s[16:17] scale_offset
	s_wait_xcnt 0x1
	s_mov_b32 s4, exec_lo
	s_mov_b32 s2, s12
	s_wait_loadcnt 0x2
	s_wait_xcnt 0x0
	v_sub_nc_u64_e64 v[12:13], v[6:7], s[2:3]
	v_cmpx_lt_i64_e64 v[6:7], v[8:9]
	s_cbranch_execz .LBB5_3
; %bb.2:
	s_delay_alu instid0(VALU_DEP_2)
	v_lshl_add_u64 v[6:7], v[12:13], 3, s[10:11]
	global_load_b64 v[6:7], v[6:7], off
	s_wait_loadcnt 0x0
	v_sub_nc_u64_e64 v[14:15], v[6:7], s[2:3]
.LBB5_3:
	s_or_b32 exec_lo, exec_lo, s4
	s_load_b64 s[4:5], s[0:1], 0x28
	s_mov_b32 s9, 0
	s_mov_b32 s12, s13
	;; [unrolled: 1-line block ×3, first 2 shown]
	v_mov_b64_e32 v[16:17], s[6:7]
	s_wait_loadcnt 0x1
	v_sub_nc_u64_e64 v[18:19], v[2:3], s[12:13]
	s_mov_b32 s8, exec_lo
	v_cmpx_lt_i64_e64 v[2:3], v[4:5]
	s_cbranch_execz .LBB5_5
; %bb.4:
	s_wait_kmcnt 0x0
	s_delay_alu instid0(VALU_DEP_2)
	v_lshl_add_u64 v[2:3], v[18:19], 3, s[4:5]
	global_load_b64 v[2:3], v[2:3], off
	s_wait_loadcnt 0x0
	v_sub_nc_u64_e64 v[16:17], v[2:3], s[12:13]
.LBB5_5:
	s_or_b32 exec_lo, exec_lo, s8
	v_mbcnt_lo_u32_b32 v20, -1, 0
	v_dual_mov_b32 v7, 0 :: v_dual_bitop2_b32 v6, 63, v0 bitop3:0x40
	s_mov_b32 s8, s14
	v_and_b32_e32 v26, 0xc0, v0
	s_delay_alu instid0(VALU_DEP_3)
	v_or_b32_e32 v1, 32, v20
	v_sub_nc_u64_e64 v[2:3], v[8:9], s[2:3]
	s_wait_loadcnt 0x0
	v_sub_nc_u64_e64 v[8:9], v[10:11], s[8:9]
	v_add_nc_u64_e32 v[10:11], v[12:13], v[6:7]
	v_bitop3_b32 v12, v0, 63, v0 bitop3:0xc
	v_cmp_gt_i32_e32 vcc_lo, 32, v1
	v_min_i64 v[16:17], v[16:17], v[14:15]
	s_load_b64 s[16:17], s[0:1], 0x38
	v_sub_nc_u64_e64 v[4:5], v[4:5], s[12:13]
	v_lshrrev_b64 v[12:13], v12, -1
	v_cndmask_b32_e32 v21, v20, v1, vcc_lo
	v_add_nc_u64_e32 v[0:1], v[18:19], v[6:7]
	v_xor_b32_e32 v18, 16, v20
	v_add_nc_u64_e32 v[14:15], s[8:9], v[6:7]
	v_dual_mov_b32 v33, 1 :: v_dual_add_nc_u32 v32, v26, v6
	v_lshlrev_b32_e32 v13, 2, v21
	s_delay_alu instid0(VALU_DEP_4) | instskip(SKIP_4) | instid1(VALU_DEP_2)
	v_cmp_gt_i32_e32 vcc_lo, 32, v18
	v_xor_b32_e32 v19, 8, v20
	s_wait_xcnt 0x0
	s_mov_b32 s1, 0
	v_cndmask_b32_e32 v18, v20, v18, vcc_lo
	v_cmp_gt_i32_e32 vcc_lo, 32, v19
	s_delay_alu instid0(VALU_DEP_2) | instskip(SKIP_1) | instid1(VALU_DEP_2)
	v_dual_lshlrev_b32 v27, 2, v18 :: v_dual_bitop2_b32 v21, 4, v20 bitop3:0x14
	v_cndmask_b32_e32 v19, v20, v19, vcc_lo
	v_cmp_gt_i32_e32 vcc_lo, 32, v21
	v_dual_cndmask_b32 v21, v20, v21, vcc_lo :: v_dual_bitop2_b32 v22, 2, v20 bitop3:0x14
	s_delay_alu instid0(VALU_DEP_1) | instskip(NEXT) | instid1(VALU_DEP_4)
	v_cmp_gt_i32_e32 vcc_lo, 32, v22
	v_dual_lshlrev_b32 v28, 2, v19 :: v_dual_bitop2_b32 v23, 1, v20 bitop3:0x14
	s_delay_alu instid0(VALU_DEP_3) | instskip(NEXT) | instid1(VALU_DEP_2)
	v_dual_cndmask_b32 v22, v20, v22 :: v_dual_lshlrev_b32 v29, 2, v21
	v_cmp_gt_i32_e32 vcc_lo, 32, v23
	s_delay_alu instid0(VALU_DEP_2) | instskip(NEXT) | instid1(VALU_DEP_1)
	v_dual_cndmask_b32 v20, v20, v23, vcc_lo :: v_dual_lshlrev_b32 v30, 2, v22
	v_lshlrev_b32_e32 v31, 2, v20
	s_branch .LBB5_7
.LBB5_6:                                ;   in Loop: Header=BB5_7 Depth=1
	s_wait_xcnt 0x0
	s_or_b32 exec_lo, exec_lo, s8
	ds_bpermute_b32 v16, v13, v18
	ds_bpermute_b32 v17, v13, v19
	s_bcnt1_i32_b32 s8, vcc_lo
	s_delay_alu instid0(SALU_CYCLE_1)
	v_add_nc_u64_e32 v[8:9], s[8:9], v[8:9]
	s_wait_dscnt 0x0
	v_min_i64 v[16:17], v[16:17], v[18:19]
	ds_bpermute_b32 v18, v27, v16
	ds_bpermute_b32 v19, v27, v17
	s_wait_dscnt 0x0
	v_min_i64 v[16:17], v[18:19], v[16:17]
	ds_bpermute_b32 v18, v28, v16
	ds_bpermute_b32 v19, v28, v17
	;; [unrolled: 4-line block ×5, first 2 shown]
	s_wait_dscnt 0x0
	v_min_i64 v[16:17], v[18:19], v[16:17]
	s_delay_alu instid0(VALU_DEP_1) | instskip(SKIP_1) | instid1(SALU_CYCLE_1)
	v_cmp_le_i64_e64 s0, s[6:7], v[16:17]
	s_or_b32 s1, s0, s1
	s_and_not1_b32 exec_lo, exec_lo, s1
	s_cbranch_execz .LBB5_29
.LBB5_7:                                ; =>This Loop Header: Depth=1
                                        ;     Child Loop BB5_10 Depth 2
                                        ;     Child Loop BB5_20 Depth 2
	v_mov_b64_e32 v[18:19], s[6:7]
	s_mov_b32 s8, exec_lo
	ds_store_b8 v32, v7
	s_wait_dscnt 0x0
	v_cmpx_lt_i64_e64 v[10:11], v[2:3]
	s_cbranch_execz .LBB5_17
; %bb.8:                                ;   in Loop: Header=BB5_7 Depth=1
	v_mov_b64_e32 v[18:19], s[6:7]
	v_lshl_add_u64 v[20:21], v[10:11], 3, s[10:11]
	s_mov_b32 s14, 0
	s_branch .LBB5_10
.LBB5_9:                                ;   in Loop: Header=BB5_10 Depth=2
	s_or_b32 exec_lo, exec_lo, s15
	s_delay_alu instid0(SALU_CYCLE_1) | instskip(NEXT) | instid1(SALU_CYCLE_1)
	s_and_b32 s0, exec_lo, s0
	s_or_b32 s14, s0, s14
	s_delay_alu instid0(SALU_CYCLE_1)
	s_and_not1_b32 exec_lo, exec_lo, s14
	s_cbranch_execz .LBB5_16
.LBB5_10:                               ;   Parent Loop BB5_7 Depth=1
                                        ; =>  This Inner Loop Header: Depth=2
	global_load_b64 v[22:23], v[20:21], off
	s_wait_loadcnt 0x0
	v_sub_nc_u64_e64 v[24:25], v[22:23], s[2:3]
	s_delay_alu instid0(VALU_DEP_1) | instskip(NEXT) | instid1(VALU_DEP_1)
	v_sub_nc_u64_e32 v[22:23], v[24:25], v[16:17]
	v_cmp_lt_i64_e64 s0, 63, v[22:23]
	v_cmp_gt_i64_e32 vcc_lo, 64, v[22:23]
	s_wait_xcnt 0x0
	s_and_saveexec_b32 s15, s0
	s_delay_alu instid0(SALU_CYCLE_1)
	s_xor_b32 s0, exec_lo, s15
	s_cbranch_execnz .LBB5_13
; %bb.11:                               ;   in Loop: Header=BB5_10 Depth=2
	s_and_not1_saveexec_b32 s0, s0
	s_cbranch_execnz .LBB5_14
.LBB5_12:                               ;   in Loop: Header=BB5_10 Depth=2
	s_or_b32 exec_lo, exec_lo, s0
	s_mov_b32 s0, -1
	s_and_saveexec_b32 s15, vcc_lo
	s_cbranch_execz .LBB5_9
	s_branch .LBB5_15
.LBB5_13:                               ;   in Loop: Header=BB5_10 Depth=2
	v_min_i64 v[18:19], v[24:25], v[18:19]
                                        ; implicit-def: $vgpr22_vgpr23
	s_and_not1_saveexec_b32 s0, s0
	s_cbranch_execz .LBB5_12
.LBB5_14:                               ;   in Loop: Header=BB5_10 Depth=2
	v_add_nc_u32_e32 v6, v26, v22
	ds_store_b8 v6, v33
	s_or_b32 exec_lo, exec_lo, s0
	s_mov_b32 s0, -1
	s_and_saveexec_b32 s15, vcc_lo
	s_cbranch_execz .LBB5_9
.LBB5_15:                               ;   in Loop: Header=BB5_10 Depth=2
	v_add_nc_u64_e32 v[10:11], 64, v[10:11]
	v_add_nc_u64_e32 v[20:21], 0x200, v[20:21]
	s_delay_alu instid0(VALU_DEP_2)
	v_cmp_ge_i64_e32 vcc_lo, v[10:11], v[2:3]
	s_or_not1_b32 s0, vcc_lo, exec_lo
	s_branch .LBB5_9
.LBB5_16:                               ;   in Loop: Header=BB5_7 Depth=1
	s_or_b32 exec_lo, exec_lo, s14
.LBB5_17:                               ;   in Loop: Header=BB5_7 Depth=1
	s_delay_alu instid0(SALU_CYCLE_1) | instskip(NEXT) | instid1(SALU_CYCLE_1)
	s_or_b32 exec_lo, exec_lo, s8
	s_mov_b32 s8, exec_lo
	s_wait_dscnt 0x0
	v_cmpx_lt_i64_e64 v[0:1], v[4:5]
	s_cbranch_execz .LBB5_27
; %bb.18:                               ;   in Loop: Header=BB5_7 Depth=1
	s_wait_kmcnt 0x0
	v_lshl_add_u64 v[20:21], v[0:1], 3, s[4:5]
	s_mov_b32 s14, 0
	s_branch .LBB5_20
.LBB5_19:                               ;   in Loop: Header=BB5_20 Depth=2
	s_or_b32 exec_lo, exec_lo, s15
	s_delay_alu instid0(SALU_CYCLE_1) | instskip(NEXT) | instid1(SALU_CYCLE_1)
	s_and_b32 s0, exec_lo, s0
	s_or_b32 s14, s0, s14
	s_delay_alu instid0(SALU_CYCLE_1)
	s_and_not1_b32 exec_lo, exec_lo, s14
	s_cbranch_execz .LBB5_26
.LBB5_20:                               ;   Parent Loop BB5_7 Depth=1
                                        ; =>  This Inner Loop Header: Depth=2
	global_load_b64 v[22:23], v[20:21], off
	s_wait_loadcnt 0x0
	v_sub_nc_u64_e64 v[24:25], v[22:23], s[12:13]
	s_delay_alu instid0(VALU_DEP_1) | instskip(NEXT) | instid1(VALU_DEP_1)
	v_sub_nc_u64_e32 v[22:23], v[24:25], v[16:17]
	v_cmp_lt_i64_e64 s0, 63, v[22:23]
	v_cmp_gt_i64_e32 vcc_lo, 64, v[22:23]
	s_wait_xcnt 0x0
	s_and_saveexec_b32 s15, s0
	s_delay_alu instid0(SALU_CYCLE_1)
	s_xor_b32 s0, exec_lo, s15
	s_cbranch_execnz .LBB5_23
; %bb.21:                               ;   in Loop: Header=BB5_20 Depth=2
	s_and_not1_saveexec_b32 s0, s0
	s_cbranch_execnz .LBB5_24
.LBB5_22:                               ;   in Loop: Header=BB5_20 Depth=2
	s_or_b32 exec_lo, exec_lo, s0
	s_mov_b32 s0, -1
	s_and_saveexec_b32 s15, vcc_lo
	s_cbranch_execz .LBB5_19
	s_branch .LBB5_25
.LBB5_23:                               ;   in Loop: Header=BB5_20 Depth=2
	v_min_i64 v[18:19], v[24:25], v[18:19]
                                        ; implicit-def: $vgpr22_vgpr23
	s_and_not1_saveexec_b32 s0, s0
	s_cbranch_execz .LBB5_22
.LBB5_24:                               ;   in Loop: Header=BB5_20 Depth=2
	v_add_nc_u32_e32 v6, v26, v22
	ds_store_b8 v6, v33
	s_or_b32 exec_lo, exec_lo, s0
	s_mov_b32 s0, -1
	s_and_saveexec_b32 s15, vcc_lo
	s_cbranch_execz .LBB5_19
.LBB5_25:                               ;   in Loop: Header=BB5_20 Depth=2
	v_add_nc_u64_e32 v[0:1], 64, v[0:1]
	v_add_nc_u64_e32 v[20:21], 0x200, v[20:21]
	s_delay_alu instid0(VALU_DEP_2)
	v_cmp_ge_i64_e32 vcc_lo, v[0:1], v[4:5]
	s_or_not1_b32 s0, vcc_lo, exec_lo
	s_branch .LBB5_19
.LBB5_26:                               ;   in Loop: Header=BB5_7 Depth=1
	s_or_b32 exec_lo, exec_lo, s14
.LBB5_27:                               ;   in Loop: Header=BB5_7 Depth=1
	s_delay_alu instid0(SALU_CYCLE_1)
	s_or_b32 exec_lo, exec_lo, s8
	s_wait_dscnt 0x0
	ds_load_u8 v6, v32
	s_mov_b32 s8, exec_lo
	s_wait_dscnt 0x0
	v_and_b32_e32 v20, 1, v6
	v_cmp_ne_u16_e32 vcc_lo, 0, v6
	s_delay_alu instid0(VALU_DEP_2)
	v_cmpx_eq_u32_e32 1, v20
	s_cbranch_execz .LBB5_6
; %bb.28:                               ;   in Loop: Header=BB5_7 Depth=1
	v_and_b32_e32 v6, vcc_lo, v12
	s_wait_kmcnt 0x0
	v_lshl_add_u64 v[20:21], v[8:9], 3, s[16:17]
	v_add_nc_u64_e32 v[16:17], v[14:15], v[16:17]
	s_delay_alu instid0(VALU_DEP_3) | instskip(NEXT) | instid1(VALU_DEP_1)
	v_bcnt_u32_b32 v6, v6, 0
	v_lshlrev_b32_e32 v6, 3, v6
	s_delay_alu instid0(VALU_DEP_1)
	v_add_nc_u64_e32 v[20:21], v[20:21], v[6:7]
	global_store_b64 v[20:21], v[16:17], off offset:-8
	s_branch .LBB5_6
.LBB5_29:
	s_endpgm
	.section	.rodata,"a",@progbits
	.p2align	6, 0x0
	.amdhsa_kernel _ZN9rocsparseL38csrgeam_fill_symbolic_multipass_kernelILj256ELj64EllEEvllPKT1_PKT2_S3_S6_S3_PS4_21rocsparse_index_base_S8_S8_
		.amdhsa_group_segment_fixed_size 256
		.amdhsa_private_segment_fixed_size 0
		.amdhsa_kernarg_size 76
		.amdhsa_user_sgpr_count 2
		.amdhsa_user_sgpr_dispatch_ptr 0
		.amdhsa_user_sgpr_queue_ptr 0
		.amdhsa_user_sgpr_kernarg_segment_ptr 1
		.amdhsa_user_sgpr_dispatch_id 0
		.amdhsa_user_sgpr_kernarg_preload_length 0
		.amdhsa_user_sgpr_kernarg_preload_offset 0
		.amdhsa_user_sgpr_private_segment_size 0
		.amdhsa_wavefront_size32 1
		.amdhsa_uses_dynamic_stack 0
		.amdhsa_enable_private_segment 0
		.amdhsa_system_sgpr_workgroup_id_x 1
		.amdhsa_system_sgpr_workgroup_id_y 0
		.amdhsa_system_sgpr_workgroup_id_z 0
		.amdhsa_system_sgpr_workgroup_info 0
		.amdhsa_system_vgpr_workitem_id 0
		.amdhsa_next_free_vgpr 34
		.amdhsa_next_free_sgpr 18
		.amdhsa_named_barrier_count 0
		.amdhsa_reserve_vcc 1
		.amdhsa_float_round_mode_32 0
		.amdhsa_float_round_mode_16_64 0
		.amdhsa_float_denorm_mode_32 3
		.amdhsa_float_denorm_mode_16_64 3
		.amdhsa_fp16_overflow 0
		.amdhsa_memory_ordered 1
		.amdhsa_forward_progress 1
		.amdhsa_inst_pref_size 12
		.amdhsa_round_robin_scheduling 0
		.amdhsa_exception_fp_ieee_invalid_op 0
		.amdhsa_exception_fp_denorm_src 0
		.amdhsa_exception_fp_ieee_div_zero 0
		.amdhsa_exception_fp_ieee_overflow 0
		.amdhsa_exception_fp_ieee_underflow 0
		.amdhsa_exception_fp_ieee_inexact 0
		.amdhsa_exception_int_div_zero 0
	.end_amdhsa_kernel
	.section	.text._ZN9rocsparseL38csrgeam_fill_symbolic_multipass_kernelILj256ELj64EllEEvllPKT1_PKT2_S3_S6_S3_PS4_21rocsparse_index_base_S8_S8_,"axG",@progbits,_ZN9rocsparseL38csrgeam_fill_symbolic_multipass_kernelILj256ELj64EllEEvllPKT1_PKT2_S3_S6_S3_PS4_21rocsparse_index_base_S8_S8_,comdat
.Lfunc_end5:
	.size	_ZN9rocsparseL38csrgeam_fill_symbolic_multipass_kernelILj256ELj64EllEEvllPKT1_PKT2_S3_S6_S3_PS4_21rocsparse_index_base_S8_S8_, .Lfunc_end5-_ZN9rocsparseL38csrgeam_fill_symbolic_multipass_kernelILj256ELj64EllEEvllPKT1_PKT2_S3_S6_S3_PS4_21rocsparse_index_base_S8_S8_
                                        ; -- End function
	.set _ZN9rocsparseL38csrgeam_fill_symbolic_multipass_kernelILj256ELj64EllEEvllPKT1_PKT2_S3_S6_S3_PS4_21rocsparse_index_base_S8_S8_.num_vgpr, 34
	.set _ZN9rocsparseL38csrgeam_fill_symbolic_multipass_kernelILj256ELj64EllEEvllPKT1_PKT2_S3_S6_S3_PS4_21rocsparse_index_base_S8_S8_.num_agpr, 0
	.set _ZN9rocsparseL38csrgeam_fill_symbolic_multipass_kernelILj256ELj64EllEEvllPKT1_PKT2_S3_S6_S3_PS4_21rocsparse_index_base_S8_S8_.numbered_sgpr, 18
	.set _ZN9rocsparseL38csrgeam_fill_symbolic_multipass_kernelILj256ELj64EllEEvllPKT1_PKT2_S3_S6_S3_PS4_21rocsparse_index_base_S8_S8_.num_named_barrier, 0
	.set _ZN9rocsparseL38csrgeam_fill_symbolic_multipass_kernelILj256ELj64EllEEvllPKT1_PKT2_S3_S6_S3_PS4_21rocsparse_index_base_S8_S8_.private_seg_size, 0
	.set _ZN9rocsparseL38csrgeam_fill_symbolic_multipass_kernelILj256ELj64EllEEvllPKT1_PKT2_S3_S6_S3_PS4_21rocsparse_index_base_S8_S8_.uses_vcc, 1
	.set _ZN9rocsparseL38csrgeam_fill_symbolic_multipass_kernelILj256ELj64EllEEvllPKT1_PKT2_S3_S6_S3_PS4_21rocsparse_index_base_S8_S8_.uses_flat_scratch, 0
	.set _ZN9rocsparseL38csrgeam_fill_symbolic_multipass_kernelILj256ELj64EllEEvllPKT1_PKT2_S3_S6_S3_PS4_21rocsparse_index_base_S8_S8_.has_dyn_sized_stack, 0
	.set _ZN9rocsparseL38csrgeam_fill_symbolic_multipass_kernelILj256ELj64EllEEvllPKT1_PKT2_S3_S6_S3_PS4_21rocsparse_index_base_S8_S8_.has_recursion, 0
	.set _ZN9rocsparseL38csrgeam_fill_symbolic_multipass_kernelILj256ELj64EllEEvllPKT1_PKT2_S3_S6_S3_PS4_21rocsparse_index_base_S8_S8_.has_indirect_call, 0
	.section	.AMDGPU.csdata,"",@progbits
; Kernel info:
; codeLenInByte = 1440
; TotalNumSgprs: 20
; NumVgprs: 34
; ScratchSize: 0
; MemoryBound: 0
; FloatMode: 240
; IeeeMode: 1
; LDSByteSize: 256 bytes/workgroup (compile time only)
; SGPRBlocks: 0
; VGPRBlocks: 2
; NumSGPRsForWavesPerEU: 20
; NumVGPRsForWavesPerEU: 34
; NamedBarCnt: 0
; Occupancy: 16
; WaveLimiterHint : 1
; COMPUTE_PGM_RSRC2:SCRATCH_EN: 0
; COMPUTE_PGM_RSRC2:USER_SGPR: 2
; COMPUTE_PGM_RSRC2:TRAP_HANDLER: 0
; COMPUTE_PGM_RSRC2:TGID_X_EN: 1
; COMPUTE_PGM_RSRC2:TGID_Y_EN: 0
; COMPUTE_PGM_RSRC2:TGID_Z_EN: 0
; COMPUTE_PGM_RSRC2:TIDIG_COMP_CNT: 0
	.section	.AMDGPU.gpr_maximums,"",@progbits
	.set amdgpu.max_num_vgpr, 0
	.set amdgpu.max_num_agpr, 0
	.set amdgpu.max_num_sgpr, 0
	.section	.AMDGPU.csdata,"",@progbits
	.type	__hip_cuid_1c7ee9c548171a20,@object ; @__hip_cuid_1c7ee9c548171a20
	.section	.bss,"aw",@nobits
	.globl	__hip_cuid_1c7ee9c548171a20
__hip_cuid_1c7ee9c548171a20:
	.byte	0                               ; 0x0
	.size	__hip_cuid_1c7ee9c548171a20, 1

	.ident	"AMD clang version 22.0.0git (https://github.com/RadeonOpenCompute/llvm-project roc-7.2.4 26084 f58b06dce1f9c15707c5f808fd002e18c2accf7e)"
	.section	".note.GNU-stack","",@progbits
	.addrsig
	.addrsig_sym __hip_cuid_1c7ee9c548171a20
	.amdgpu_metadata
---
amdhsa.kernels:
  - .args:
      - .offset:         0
        .size:           8
        .value_kind:     by_value
      - .offset:         8
        .size:           8
        .value_kind:     by_value
      - .actual_access:  read_only
        .address_space:  global
        .offset:         16
        .size:           8
        .value_kind:     global_buffer
      - .actual_access:  read_only
        .address_space:  global
        .offset:         24
        .size:           8
        .value_kind:     global_buffer
      - .actual_access:  read_only
        .address_space:  global
        .offset:         32
        .size:           8
        .value_kind:     global_buffer
      - .actual_access:  read_only
        .address_space:  global
        .offset:         40
        .size:           8
        .value_kind:     global_buffer
      - .actual_access:  read_only
        .address_space:  global
        .offset:         48
        .size:           8
        .value_kind:     global_buffer
      - .actual_access:  write_only
        .address_space:  global
        .offset:         56
        .size:           8
        .value_kind:     global_buffer
      - .offset:         64
        .size:           4
        .value_kind:     by_value
      - .offset:         68
        .size:           4
        .value_kind:     by_value
      - .offset:         72
        .size:           4
        .value_kind:     by_value
    .group_segment_fixed_size: 256
    .kernarg_segment_align: 8
    .kernarg_segment_size: 76
    .language:       OpenCL C
    .language_version:
      - 2
      - 0
    .max_flat_workgroup_size: 256
    .name:           _ZN9rocsparseL38csrgeam_fill_symbolic_multipass_kernelILj256ELj32EiiEEvllPKT1_PKT2_S3_S6_S3_PS4_21rocsparse_index_base_S8_S8_
    .private_segment_fixed_size: 0
    .sgpr_count:     17
    .sgpr_spill_count: 0
    .symbol:         _ZN9rocsparseL38csrgeam_fill_symbolic_multipass_kernelILj256ELj32EiiEEvllPKT1_PKT2_S3_S6_S3_PS4_21rocsparse_index_base_S8_S8_.kd
    .uniform_work_group_size: 1
    .uses_dynamic_stack: false
    .vgpr_count:     21
    .vgpr_spill_count: 0
    .wavefront_size: 32
  - .args:
      - .offset:         0
        .size:           8
        .value_kind:     by_value
      - .offset:         8
        .size:           8
        .value_kind:     by_value
      - .actual_access:  read_only
        .address_space:  global
        .offset:         16
        .size:           8
        .value_kind:     global_buffer
      - .actual_access:  read_only
        .address_space:  global
        .offset:         24
        .size:           8
        .value_kind:     global_buffer
      - .actual_access:  read_only
        .address_space:  global
        .offset:         32
        .size:           8
        .value_kind:     global_buffer
      - .actual_access:  read_only
        .address_space:  global
        .offset:         40
        .size:           8
        .value_kind:     global_buffer
      - .actual_access:  read_only
        .address_space:  global
        .offset:         48
        .size:           8
        .value_kind:     global_buffer
      - .actual_access:  write_only
        .address_space:  global
        .offset:         56
        .size:           8
        .value_kind:     global_buffer
      - .offset:         64
        .size:           4
        .value_kind:     by_value
      - .offset:         68
        .size:           4
        .value_kind:     by_value
      - .offset:         72
        .size:           4
        .value_kind:     by_value
    .group_segment_fixed_size: 256
    .kernarg_segment_align: 8
    .kernarg_segment_size: 76
    .language:       OpenCL C
    .language_version:
      - 2
      - 0
    .max_flat_workgroup_size: 256
    .name:           _ZN9rocsparseL38csrgeam_fill_symbolic_multipass_kernelILj256ELj64EiiEEvllPKT1_PKT2_S3_S6_S3_PS4_21rocsparse_index_base_S8_S8_
    .private_segment_fixed_size: 0
    .sgpr_count:     17
    .sgpr_spill_count: 0
    .symbol:         _ZN9rocsparseL38csrgeam_fill_symbolic_multipass_kernelILj256ELj64EiiEEvllPKT1_PKT2_S3_S6_S3_PS4_21rocsparse_index_base_S8_S8_.kd
    .uniform_work_group_size: 1
    .uses_dynamic_stack: false
    .vgpr_count:     22
    .vgpr_spill_count: 0
    .wavefront_size: 32
  - .args:
      - .offset:         0
        .size:           8
        .value_kind:     by_value
      - .offset:         8
        .size:           8
        .value_kind:     by_value
      - .actual_access:  read_only
        .address_space:  global
        .offset:         16
        .size:           8
        .value_kind:     global_buffer
      - .actual_access:  read_only
        .address_space:  global
        .offset:         24
        .size:           8
        .value_kind:     global_buffer
      - .actual_access:  read_only
        .address_space:  global
        .offset:         32
        .size:           8
        .value_kind:     global_buffer
      - .actual_access:  read_only
        .address_space:  global
        .offset:         40
        .size:           8
        .value_kind:     global_buffer
      - .actual_access:  read_only
        .address_space:  global
        .offset:         48
        .size:           8
        .value_kind:     global_buffer
      - .actual_access:  write_only
        .address_space:  global
        .offset:         56
        .size:           8
        .value_kind:     global_buffer
      - .offset:         64
        .size:           4
        .value_kind:     by_value
      - .offset:         68
        .size:           4
        .value_kind:     by_value
      - .offset:         72
        .size:           4
        .value_kind:     by_value
    .group_segment_fixed_size: 256
    .kernarg_segment_align: 8
    .kernarg_segment_size: 76
    .language:       OpenCL C
    .language_version:
      - 2
      - 0
    .max_flat_workgroup_size: 256
    .name:           _ZN9rocsparseL38csrgeam_fill_symbolic_multipass_kernelILj256ELj32EliEEvllPKT1_PKT2_S3_S6_S3_PS4_21rocsparse_index_base_S8_S8_
    .private_segment_fixed_size: 0
    .sgpr_count:     20
    .sgpr_spill_count: 0
    .symbol:         _ZN9rocsparseL38csrgeam_fill_symbolic_multipass_kernelILj256ELj32EliEEvllPKT1_PKT2_S3_S6_S3_PS4_21rocsparse_index_base_S8_S8_.kd
    .uniform_work_group_size: 1
    .uses_dynamic_stack: false
    .vgpr_count:     28
    .vgpr_spill_count: 0
    .wavefront_size: 32
  - .args:
      - .offset:         0
        .size:           8
        .value_kind:     by_value
      - .offset:         8
        .size:           8
        .value_kind:     by_value
      - .actual_access:  read_only
        .address_space:  global
        .offset:         16
        .size:           8
        .value_kind:     global_buffer
      - .actual_access:  read_only
        .address_space:  global
        .offset:         24
        .size:           8
        .value_kind:     global_buffer
      - .actual_access:  read_only
        .address_space:  global
        .offset:         32
        .size:           8
        .value_kind:     global_buffer
      - .actual_access:  read_only
        .address_space:  global
        .offset:         40
        .size:           8
        .value_kind:     global_buffer
      - .actual_access:  read_only
        .address_space:  global
        .offset:         48
        .size:           8
        .value_kind:     global_buffer
      - .actual_access:  write_only
        .address_space:  global
        .offset:         56
        .size:           8
        .value_kind:     global_buffer
      - .offset:         64
        .size:           4
        .value_kind:     by_value
      - .offset:         68
        .size:           4
        .value_kind:     by_value
      - .offset:         72
        .size:           4
        .value_kind:     by_value
    .group_segment_fixed_size: 256
    .kernarg_segment_align: 8
    .kernarg_segment_size: 76
    .language:       OpenCL C
    .language_version:
      - 2
      - 0
    .max_flat_workgroup_size: 256
    .name:           _ZN9rocsparseL38csrgeam_fill_symbolic_multipass_kernelILj256ELj64EliEEvllPKT1_PKT2_S3_S6_S3_PS4_21rocsparse_index_base_S8_S8_
    .private_segment_fixed_size: 0
    .sgpr_count:     20
    .sgpr_spill_count: 0
    .symbol:         _ZN9rocsparseL38csrgeam_fill_symbolic_multipass_kernelILj256ELj64EliEEvllPKT1_PKT2_S3_S6_S3_PS4_21rocsparse_index_base_S8_S8_.kd
    .uniform_work_group_size: 1
    .uses_dynamic_stack: false
    .vgpr_count:     29
    .vgpr_spill_count: 0
    .wavefront_size: 32
  - .args:
      - .offset:         0
        .size:           8
        .value_kind:     by_value
      - .offset:         8
        .size:           8
        .value_kind:     by_value
      - .actual_access:  read_only
        .address_space:  global
        .offset:         16
        .size:           8
        .value_kind:     global_buffer
      - .actual_access:  read_only
        .address_space:  global
        .offset:         24
        .size:           8
        .value_kind:     global_buffer
      - .actual_access:  read_only
        .address_space:  global
        .offset:         32
        .size:           8
        .value_kind:     global_buffer
      - .actual_access:  read_only
        .address_space:  global
        .offset:         40
        .size:           8
        .value_kind:     global_buffer
      - .actual_access:  read_only
        .address_space:  global
        .offset:         48
        .size:           8
        .value_kind:     global_buffer
      - .actual_access:  write_only
        .address_space:  global
        .offset:         56
        .size:           8
        .value_kind:     global_buffer
      - .offset:         64
        .size:           4
        .value_kind:     by_value
      - .offset:         68
        .size:           4
        .value_kind:     by_value
      - .offset:         72
        .size:           4
        .value_kind:     by_value
    .group_segment_fixed_size: 256
    .kernarg_segment_align: 8
    .kernarg_segment_size: 76
    .language:       OpenCL C
    .language_version:
      - 2
      - 0
    .max_flat_workgroup_size: 256
    .name:           _ZN9rocsparseL38csrgeam_fill_symbolic_multipass_kernelILj256ELj32EllEEvllPKT1_PKT2_S3_S6_S3_PS4_21rocsparse_index_base_S8_S8_
    .private_segment_fixed_size: 0
    .sgpr_count:     20
    .sgpr_spill_count: 0
    .symbol:         _ZN9rocsparseL38csrgeam_fill_symbolic_multipass_kernelILj256ELj32EllEEvllPKT1_PKT2_S3_S6_S3_PS4_21rocsparse_index_base_S8_S8_.kd
    .uniform_work_group_size: 1
    .uses_dynamic_stack: false
    .vgpr_count:     33
    .vgpr_spill_count: 0
    .wavefront_size: 32
  - .args:
      - .offset:         0
        .size:           8
        .value_kind:     by_value
      - .offset:         8
        .size:           8
        .value_kind:     by_value
      - .actual_access:  read_only
        .address_space:  global
        .offset:         16
        .size:           8
        .value_kind:     global_buffer
      - .actual_access:  read_only
        .address_space:  global
        .offset:         24
        .size:           8
        .value_kind:     global_buffer
      - .actual_access:  read_only
        .address_space:  global
        .offset:         32
        .size:           8
        .value_kind:     global_buffer
      - .actual_access:  read_only
        .address_space:  global
        .offset:         40
        .size:           8
        .value_kind:     global_buffer
      - .actual_access:  read_only
        .address_space:  global
        .offset:         48
        .size:           8
        .value_kind:     global_buffer
      - .actual_access:  write_only
        .address_space:  global
        .offset:         56
        .size:           8
        .value_kind:     global_buffer
      - .offset:         64
        .size:           4
        .value_kind:     by_value
      - .offset:         68
        .size:           4
        .value_kind:     by_value
      - .offset:         72
        .size:           4
        .value_kind:     by_value
    .group_segment_fixed_size: 256
    .kernarg_segment_align: 8
    .kernarg_segment_size: 76
    .language:       OpenCL C
    .language_version:
      - 2
      - 0
    .max_flat_workgroup_size: 256
    .name:           _ZN9rocsparseL38csrgeam_fill_symbolic_multipass_kernelILj256ELj64EllEEvllPKT1_PKT2_S3_S6_S3_PS4_21rocsparse_index_base_S8_S8_
    .private_segment_fixed_size: 0
    .sgpr_count:     20
    .sgpr_spill_count: 0
    .symbol:         _ZN9rocsparseL38csrgeam_fill_symbolic_multipass_kernelILj256ELj64EllEEvllPKT1_PKT2_S3_S6_S3_PS4_21rocsparse_index_base_S8_S8_.kd
    .uniform_work_group_size: 1
    .uses_dynamic_stack: false
    .vgpr_count:     34
    .vgpr_spill_count: 0
    .wavefront_size: 32
amdhsa.target:   amdgcn-amd-amdhsa--gfx1250
amdhsa.version:
  - 1
  - 2
...

	.end_amdgpu_metadata
